;; amdgpu-corpus repo=zjin-lcf/HeCBench kind=compiled arch=gfx1250 opt=O3
	.amdgcn_target "amdgcn-amd-amdhsa--gfx1250"
	.amdhsa_code_object_version 6
	.text
	.protected	_Z22pad_projections_kernelPdiiii ; -- Begin function _Z22pad_projections_kernelPdiiii
	.globl	_Z22pad_projections_kernelPdiiii
	.p2align	8
	.type	_Z22pad_projections_kernelPdiiii,@function
_Z22pad_projections_kernelPdiiii:       ; @_Z22pad_projections_kernelPdiiii
; %bb.0:
	s_clause 0x1
	s_load_b32 s2, s[0:1], 0x24
	s_load_b128 s[4:7], s[0:1], 0x8
	s_bfe_u32 s3, ttmp6, 0x4000c
	s_and_b32 s8, ttmp6, 15
	s_add_co_i32 s3, s3, 1
	s_getreg_b32 s9, hwreg(HW_REG_IB_STS2, 6, 4)
	s_mul_i32 s3, ttmp9, s3
	s_delay_alu instid0(SALU_CYCLE_1) | instskip(SKIP_4) | instid1(SALU_CYCLE_1)
	s_add_co_i32 s8, s8, s3
	s_wait_kmcnt 0x0
	s_and_b32 s2, s2, 0xffff
	s_cmp_eq_u32 s9, 0
	s_cselect_b32 s3, ttmp9, s8
	v_mad_u32 v0, s3, s2, v0
	s_mov_b32 s2, exec_lo
	s_delay_alu instid0(VALU_DEP_1)
	v_cmpx_gt_i32_e64 s6, v0
	s_cbranch_execz .LBB0_2
; %bb.1:
	v_mad_u32 v0, s7, s4, v0
	s_load_b64 s[0:1], s[0:1], 0x0
	s_delay_alu instid0(VALU_DEP_1)
	v_mul_lo_u32 v2, v0, s5
	v_mov_b64_e32 v[0:1], 0
	s_wait_kmcnt 0x0
	global_store_b64 v2, v[0:1], s[0:1] scale_offset
.LBB0_2:
	s_endpgm
	.section	.rodata,"a",@progbits
	.p2align	6, 0x0
	.amdhsa_kernel _Z22pad_projections_kernelPdiiii
		.amdhsa_group_segment_fixed_size 0
		.amdhsa_private_segment_fixed_size 0
		.amdhsa_kernarg_size 280
		.amdhsa_user_sgpr_count 2
		.amdhsa_user_sgpr_dispatch_ptr 0
		.amdhsa_user_sgpr_queue_ptr 0
		.amdhsa_user_sgpr_kernarg_segment_ptr 1
		.amdhsa_user_sgpr_dispatch_id 0
		.amdhsa_user_sgpr_kernarg_preload_length 0
		.amdhsa_user_sgpr_kernarg_preload_offset 0
		.amdhsa_user_sgpr_private_segment_size 0
		.amdhsa_wavefront_size32 1
		.amdhsa_uses_dynamic_stack 0
		.amdhsa_enable_private_segment 0
		.amdhsa_system_sgpr_workgroup_id_x 1
		.amdhsa_system_sgpr_workgroup_id_y 0
		.amdhsa_system_sgpr_workgroup_id_z 0
		.amdhsa_system_sgpr_workgroup_info 0
		.amdhsa_system_vgpr_workitem_id 0
		.amdhsa_next_free_vgpr 3
		.amdhsa_next_free_sgpr 10
		.amdhsa_named_barrier_count 0
		.amdhsa_reserve_vcc 0
		.amdhsa_float_round_mode_32 0
		.amdhsa_float_round_mode_16_64 0
		.amdhsa_float_denorm_mode_32 3
		.amdhsa_float_denorm_mode_16_64 3
		.amdhsa_fp16_overflow 0
		.amdhsa_memory_ordered 1
		.amdhsa_forward_progress 1
		.amdhsa_inst_pref_size 2
		.amdhsa_round_robin_scheduling 0
		.amdhsa_exception_fp_ieee_invalid_op 0
		.amdhsa_exception_fp_denorm_src 0
		.amdhsa_exception_fp_ieee_div_zero 0
		.amdhsa_exception_fp_ieee_overflow 0
		.amdhsa_exception_fp_ieee_underflow 0
		.amdhsa_exception_fp_ieee_inexact 0
		.amdhsa_exception_int_div_zero 0
	.end_amdhsa_kernel
	.text
.Lfunc_end0:
	.size	_Z22pad_projections_kernelPdiiii, .Lfunc_end0-_Z22pad_projections_kernelPdiiii
                                        ; -- End function
	.set _Z22pad_projections_kernelPdiiii.num_vgpr, 3
	.set _Z22pad_projections_kernelPdiiii.num_agpr, 0
	.set _Z22pad_projections_kernelPdiiii.numbered_sgpr, 10
	.set _Z22pad_projections_kernelPdiiii.num_named_barrier, 0
	.set _Z22pad_projections_kernelPdiiii.private_seg_size, 0
	.set _Z22pad_projections_kernelPdiiii.uses_vcc, 0
	.set _Z22pad_projections_kernelPdiiii.uses_flat_scratch, 0
	.set _Z22pad_projections_kernelPdiiii.has_dyn_sized_stack, 0
	.set _Z22pad_projections_kernelPdiiii.has_recursion, 0
	.set _Z22pad_projections_kernelPdiiii.has_indirect_call, 0
	.section	.AMDGPU.csdata,"",@progbits
; Kernel info:
; codeLenInByte = 152
; TotalNumSgprs: 10
; NumVgprs: 3
; ScratchSize: 0
; MemoryBound: 0
; FloatMode: 240
; IeeeMode: 1
; LDSByteSize: 0 bytes/workgroup (compile time only)
; SGPRBlocks: 0
; VGPRBlocks: 0
; NumSGPRsForWavesPerEU: 10
; NumVGPRsForWavesPerEU: 3
; NamedBarCnt: 0
; Occupancy: 16
; WaveLimiterHint : 0
; COMPUTE_PGM_RSRC2:SCRATCH_EN: 0
; COMPUTE_PGM_RSRC2:USER_SGPR: 2
; COMPUTE_PGM_RSRC2:TRAP_HANDLER: 0
; COMPUTE_PGM_RSRC2:TGID_X_EN: 1
; COMPUTE_PGM_RSRC2:TGID_Y_EN: 0
; COMPUTE_PGM_RSRC2:TGID_Z_EN: 0
; COMPUTE_PGM_RSRC2:TIDIG_COMP_CNT: 0
	.text
	.protected	_Z20map_boudaries_kernelPdiddd ; -- Begin function _Z20map_boudaries_kernelPdiddd
	.globl	_Z20map_boudaries_kernelPdiddd
	.p2align	8
	.type	_Z20map_boudaries_kernelPdiddd,@function
_Z20map_boudaries_kernelPdiddd:         ; @_Z20map_boudaries_kernelPdiddd
; %bb.0:
	s_clause 0x1
	s_load_b32 s2, s[0:1], 0x34
	s_load_b32 s3, s[0:1], 0x8
	s_bfe_u32 s4, ttmp6, 0x4000c
	s_and_b32 s5, ttmp6, 15
	s_add_co_i32 s4, s4, 1
	s_getreg_b32 s6, hwreg(HW_REG_IB_STS2, 6, 4)
	s_mul_i32 s4, ttmp9, s4
	s_delay_alu instid0(SALU_CYCLE_1) | instskip(SKIP_4) | instid1(SALU_CYCLE_1)
	s_add_co_i32 s5, s5, s4
	s_wait_kmcnt 0x0
	s_and_b32 s2, s2, 0xffff
	s_cmp_eq_u32 s6, 0
	s_cselect_b32 s4, ttmp9, s5
	v_mad_u32 v0, s4, s2, v0
	s_mov_b32 s2, exec_lo
	s_delay_alu instid0(VALU_DEP_1)
	v_cmpx_gt_i32_e64 s3, v0
	s_cbranch_execz .LBB1_2
; %bb.1:
	v_cvt_f64_i32_e32 v[2:3], v0
	s_clause 0x1
	s_load_b128 s[4:7], s[0:1], 0x10
	s_load_b64 s[2:3], s[0:1], 0x20
	s_wait_kmcnt 0x0
	v_dual_mov_b32 v4, s2 :: v_dual_mov_b32 v5, s3
	s_load_b64 s[0:1], s[0:1], 0x0
	s_delay_alu instid0(VALU_DEP_2) | instskip(NEXT) | instid1(VALU_DEP_1)
	v_add_f64_e64 v[2:3], v[2:3], -s[4:5]
	v_fmac_f64_e32 v[4:5], s[6:7], v[2:3]
	s_wait_kmcnt 0x0
	global_store_b64 v0, v[4:5], s[0:1] scale_offset
.LBB1_2:
	s_endpgm
	.section	.rodata,"a",@progbits
	.p2align	6, 0x0
	.amdhsa_kernel _Z20map_boudaries_kernelPdiddd
		.amdhsa_group_segment_fixed_size 0
		.amdhsa_private_segment_fixed_size 0
		.amdhsa_kernarg_size 296
		.amdhsa_user_sgpr_count 2
		.amdhsa_user_sgpr_dispatch_ptr 0
		.amdhsa_user_sgpr_queue_ptr 0
		.amdhsa_user_sgpr_kernarg_segment_ptr 1
		.amdhsa_user_sgpr_dispatch_id 0
		.amdhsa_user_sgpr_kernarg_preload_length 0
		.amdhsa_user_sgpr_kernarg_preload_offset 0
		.amdhsa_user_sgpr_private_segment_size 0
		.amdhsa_wavefront_size32 1
		.amdhsa_uses_dynamic_stack 0
		.amdhsa_enable_private_segment 0
		.amdhsa_system_sgpr_workgroup_id_x 1
		.amdhsa_system_sgpr_workgroup_id_y 0
		.amdhsa_system_sgpr_workgroup_id_z 0
		.amdhsa_system_sgpr_workgroup_info 0
		.amdhsa_system_vgpr_workitem_id 0
		.amdhsa_next_free_vgpr 6
		.amdhsa_next_free_sgpr 8
		.amdhsa_named_barrier_count 0
		.amdhsa_reserve_vcc 0
		.amdhsa_float_round_mode_32 0
		.amdhsa_float_round_mode_16_64 0
		.amdhsa_float_denorm_mode_32 3
		.amdhsa_float_denorm_mode_16_64 3
		.amdhsa_fp16_overflow 0
		.amdhsa_memory_ordered 1
		.amdhsa_forward_progress 1
		.amdhsa_inst_pref_size 2
		.amdhsa_round_robin_scheduling 0
		.amdhsa_exception_fp_ieee_invalid_op 0
		.amdhsa_exception_fp_denorm_src 0
		.amdhsa_exception_fp_ieee_div_zero 0
		.amdhsa_exception_fp_ieee_overflow 0
		.amdhsa_exception_fp_ieee_underflow 0
		.amdhsa_exception_fp_ieee_inexact 0
		.amdhsa_exception_int_div_zero 0
	.end_amdhsa_kernel
	.text
.Lfunc_end1:
	.size	_Z20map_boudaries_kernelPdiddd, .Lfunc_end1-_Z20map_boudaries_kernelPdiddd
                                        ; -- End function
	.set _Z20map_boudaries_kernelPdiddd.num_vgpr, 6
	.set _Z20map_boudaries_kernelPdiddd.num_agpr, 0
	.set _Z20map_boudaries_kernelPdiddd.numbered_sgpr, 8
	.set _Z20map_boudaries_kernelPdiddd.num_named_barrier, 0
	.set _Z20map_boudaries_kernelPdiddd.private_seg_size, 0
	.set _Z20map_boudaries_kernelPdiddd.uses_vcc, 0
	.set _Z20map_boudaries_kernelPdiddd.uses_flat_scratch, 0
	.set _Z20map_boudaries_kernelPdiddd.has_dyn_sized_stack, 0
	.set _Z20map_boudaries_kernelPdiddd.has_recursion, 0
	.set _Z20map_boudaries_kernelPdiddd.has_indirect_call, 0
	.section	.AMDGPU.csdata,"",@progbits
; Kernel info:
; codeLenInByte = 180
; TotalNumSgprs: 8
; NumVgprs: 6
; ScratchSize: 0
; MemoryBound: 0
; FloatMode: 240
; IeeeMode: 1
; LDSByteSize: 0 bytes/workgroup (compile time only)
; SGPRBlocks: 0
; VGPRBlocks: 0
; NumSGPRsForWavesPerEU: 8
; NumVGPRsForWavesPerEU: 6
; NamedBarCnt: 0
; Occupancy: 16
; WaveLimiterHint : 0
; COMPUTE_PGM_RSRC2:SCRATCH_EN: 0
; COMPUTE_PGM_RSRC2:USER_SGPR: 2
; COMPUTE_PGM_RSRC2:TRAP_HANDLER: 0
; COMPUTE_PGM_RSRC2:TGID_X_EN: 1
; COMPUTE_PGM_RSRC2:TGID_Y_EN: 0
; COMPUTE_PGM_RSRC2:TGID_Z_EN: 0
; COMPUTE_PGM_RSRC2:TIDIG_COMP_CNT: 0
	.text
	.protected	_Z19rot_detector_kernelPdS_PKdS1_dddi ; -- Begin function _Z19rot_detector_kernelPdS_PKdS1_dddi
	.globl	_Z19rot_detector_kernelPdS_PKdS1_dddi
	.p2align	8
	.type	_Z19rot_detector_kernelPdS_PKdS1_dddi,@function
_Z19rot_detector_kernelPdS_PKdS1_dddi:  ; @_Z19rot_detector_kernelPdS_PKdS1_dddi
; %bb.0:
	s_clause 0x1
	s_load_b32 s2, s[0:1], 0x4c
	s_load_b32 s3, s[0:1], 0x38
	s_bfe_u32 s4, ttmp6, 0x4000c
	s_and_b32 s5, ttmp6, 15
	s_add_co_i32 s4, s4, 1
	s_getreg_b32 s6, hwreg(HW_REG_IB_STS2, 6, 4)
	s_mul_i32 s4, ttmp9, s4
	s_delay_alu instid0(SALU_CYCLE_1) | instskip(SKIP_4) | instid1(SALU_CYCLE_1)
	s_add_co_i32 s5, s5, s4
	s_wait_kmcnt 0x0
	s_and_b32 s2, s2, 0xffff
	s_cmp_eq_u32 s6, 0
	s_cselect_b32 s4, ttmp9, s5
	v_mad_u32 v0, s4, s2, v0
	s_mov_b32 s2, exec_lo
	s_delay_alu instid0(VALU_DEP_1)
	v_cmpx_gt_i32_e64 s3, v0
	s_cbranch_execz .LBB2_18
; %bb.1:
	s_clause 0x1
	s_load_b64 s[2:3], s[0:1], 0x10
	s_load_b64 s[8:9], s[0:1], 0x30
	v_ashrrev_i32_e32 v1, 31, v0
	s_wait_kmcnt 0x0
	global_load_b64 v[12:13], v0, s[2:3] scale_offset
	v_cmp_ngt_f64_e64 s12, 0x41d00000, |s[8:9]|
	v_trig_preop_f64 v[6:7], |s[8:9]|, 0
	v_trig_preop_f64 v[4:5], |s[8:9]|, 1
	s_wait_xcnt 0x0
	v_cmp_le_f64_e64 s2, 0x7b000000, |s[8:9]|
	v_ldexp_f64 v[8:9], |s[8:9]|, 0xffffff80
	v_trig_preop_f64 v[2:3], |s[8:9]|, 2
	s_and_b32 vcc_lo, exec_lo, s12
	s_cbranch_vccz .LBB2_3
; %bb.2:
	s_and_b32 s3, s9, 0x7fffffff
	s_delay_alu instid0(VALU_DEP_2) | instskip(NEXT) | instid1(VALU_DEP_3)
	v_cndmask_b32_e64 v10, s8, v8, s2
	v_cndmask_b32_e64 v11, s3, v9, s2
	s_mov_b32 s2, 0
	s_mov_b64 s[4:5], 0x3ff921fb54442d18
	s_delay_alu instid0(VALU_DEP_1) | instskip(SKIP_1) | instid1(VALU_DEP_2)
	v_mul_f64_e32 v[14:15], v[6:7], v[10:11]
	v_mul_f64_e32 v[16:17], v[4:5], v[10:11]
	v_fma_f64 v[18:19], v[6:7], v[10:11], -v[14:15]
	s_delay_alu instid0(VALU_DEP_1) | instskip(NEXT) | instid1(VALU_DEP_1)
	v_add_f64_e32 v[20:21], v[16:17], v[18:19]
	v_add_f64_e64 v[22:23], v[20:21], -v[16:17]
	v_add_f64_e32 v[26:27], v[14:15], v[20:21]
	s_delay_alu instid0(VALU_DEP_2) | instskip(SKIP_2) | instid1(VALU_DEP_4)
	v_add_f64_e64 v[24:25], v[20:21], -v[22:23]
	v_fma_f64 v[30:31], v[4:5], v[10:11], -v[16:17]
	v_add_f64_e64 v[18:19], v[18:19], -v[22:23]
	v_ldexp_f64 v[22:23], v[26:27], -2
	v_mul_f64_e32 v[28:29], v[2:3], v[10:11]
	v_add_f64_e64 v[16:17], v[16:17], -v[24:25]
	s_delay_alu instid0(VALU_DEP_3) | instskip(NEXT) | instid1(VALU_DEP_3)
	v_cmp_neq_f64_e64 vcc_lo, 0x7ff00000, |v[22:23]|
	v_add_f64_e32 v[24:25], v[28:29], v[30:31]
	v_fma_f64 v[10:11], v[2:3], v[10:11], -v[28:29]
	s_delay_alu instid0(VALU_DEP_4) | instskip(SKIP_1) | instid1(VALU_DEP_1)
	v_add_f64_e32 v[16:17], v[18:19], v[16:17]
	v_fract_f64_e32 v[18:19], v[22:23]
	v_ldexp_f64 v[18:19], v[18:19], 2
	s_delay_alu instid0(VALU_DEP_1) | instskip(SKIP_1) | instid1(VALU_DEP_3)
	v_cndmask_b32_e32 v18, 0, v18, vcc_lo
	v_add_f64_e64 v[14:15], v[26:27], -v[14:15]
	v_cndmask_b32_e32 v19, 0, v19, vcc_lo
	s_delay_alu instid0(VALU_DEP_2) | instskip(SKIP_1) | instid1(VALU_DEP_1)
	v_add_f64_e64 v[14:15], v[20:21], -v[14:15]
	v_add_f64_e32 v[20:21], v[24:25], v[16:17]
	v_add_f64_e32 v[22:23], v[14:15], v[20:21]
	v_add_f64_e64 v[32:33], v[20:21], -v[24:25]
	s_delay_alu instid0(VALU_DEP_2) | instskip(NEXT) | instid1(VALU_DEP_2)
	v_add_f64_e32 v[26:27], v[22:23], v[18:19]
	v_add_f64_e64 v[38:39], v[20:21], -v[32:33]
	v_add_f64_e64 v[16:17], v[16:17], -v[32:33]
	;; [unrolled: 1-line block ×3, first 2 shown]
	s_delay_alu instid0(VALU_DEP_4) | instskip(SKIP_1) | instid1(VALU_DEP_3)
	v_cmp_gt_f64_e32 vcc_lo, 0, v[26:27]
	v_add_f64_e64 v[26:27], v[24:25], -v[28:29]
	v_add_f64_e64 v[14:15], v[20:21], -v[14:15]
	s_and_b32 s3, vcc_lo, exec_lo
	s_cselect_b32 s3, 0x40100000, 0
	s_delay_alu instid0(VALU_DEP_2) | instskip(SKIP_3) | instid1(VALU_DEP_4)
	v_add_f64_e64 v[36:37], v[24:25], -v[26:27]
	v_add_f64_e32 v[18:19], s[2:3], v[18:19]
	v_add_f64_e64 v[26:27], v[30:31], -v[26:27]
	v_add_f64_e64 v[24:25], v[24:25], -v[38:39]
	v_add_f64_e64 v[30:31], v[28:29], -v[36:37]
	s_delay_alu instid0(VALU_DEP_4) | instskip(NEXT) | instid1(VALU_DEP_3)
	v_add_f64_e32 v[34:35], v[22:23], v[18:19]
	v_add_f64_e32 v[16:17], v[16:17], v[24:25]
	s_delay_alu instid0(VALU_DEP_3) | instskip(NEXT) | instid1(VALU_DEP_3)
	v_add_f64_e32 v[26:27], v[26:27], v[30:31]
	v_cvt_i32_f64_e32 v34, v[34:35]
	s_delay_alu instid0(VALU_DEP_2) | instskip(NEXT) | instid1(VALU_DEP_2)
	v_add_f64_e32 v[16:17], v[26:27], v[16:17]
	v_cvt_f64_i32_e32 v[32:33], v34
	s_delay_alu instid0(VALU_DEP_2) | instskip(NEXT) | instid1(VALU_DEP_2)
	v_add_f64_e32 v[10:11], v[10:11], v[16:17]
	v_add_f64_e64 v[18:19], v[18:19], -v[32:33]
	s_delay_alu instid0(VALU_DEP_2) | instskip(NEXT) | instid1(VALU_DEP_2)
	v_add_f64_e32 v[10:11], v[14:15], v[10:11]
	v_add_f64_e32 v[24:25], v[22:23], v[18:19]
	s_delay_alu instid0(VALU_DEP_1) | instskip(SKIP_1) | instid1(VALU_DEP_2)
	v_add_f64_e64 v[16:17], v[24:25], -v[18:19]
	v_cmp_le_f64_e32 vcc_lo, 0.5, v[24:25]
	v_add_f64_e64 v[14:15], v[22:23], -v[16:17]
	s_and_b32 s3, vcc_lo, exec_lo
	s_cselect_b32 s3, 0x3ff00000, 0
	v_add_co_ci_u32_e64 v22, null, 0, v34, vcc_lo
	s_delay_alu instid0(VALU_DEP_2) | instskip(SKIP_1) | instid1(VALU_DEP_1)
	v_add_f64_e32 v[10:11], v[10:11], v[14:15]
	v_add_f64_e64 v[14:15], v[24:25], -s[2:3]
	v_add_f64_e32 v[16:17], v[14:15], v[10:11]
	s_delay_alu instid0(VALU_DEP_1) | instskip(SKIP_1) | instid1(VALU_DEP_2)
	v_mul_f64_e32 v[18:19], 0x3ff921fb54442d18, v[16:17]
	v_add_f64_e64 v[14:15], v[16:17], -v[14:15]
	v_fma_f64 v[20:21], v[16:17], s[4:5], -v[18:19]
	s_delay_alu instid0(VALU_DEP_2) | instskip(NEXT) | instid1(VALU_DEP_2)
	v_add_f64_e64 v[10:11], v[10:11], -v[14:15]
	v_fmamk_f64 v[14:15], v[16:17], 0x3c91a62633145c07, v[20:21]
	s_delay_alu instid0(VALU_DEP_1) | instskip(NEXT) | instid1(VALU_DEP_1)
	v_fmac_f64_e32 v[14:15], 0x3ff921fb54442d18, v[10:11]
	v_add_f64_e32 v[10:11], v[18:19], v[14:15]
	s_delay_alu instid0(VALU_DEP_1) | instskip(NEXT) | instid1(VALU_DEP_1)
	v_add_f64_e64 v[16:17], v[10:11], -v[18:19]
	v_add_f64_e64 v[14:15], v[14:15], -v[16:17]
	s_clause 0x1
	s_load_b128 s[4:7], s[0:1], 0x20
	s_load_b64 s[10:11], s[0:1], 0x18
	s_cbranch_execz .LBB2_4
	s_branch .LBB2_5
.LBB2_3:
                                        ; implicit-def: $vgpr22
                                        ; implicit-def: $vgpr10_vgpr11
                                        ; implicit-def: $vgpr14_vgpr15
	s_clause 0x1
	s_load_b128 s[4:7], s[0:1], 0x20
	s_load_b64 s[10:11], s[0:1], 0x18
.LBB2_4:
	s_mov_b64 s[2:3], 0x3fe45f306dc9c883
	s_delay_alu instid0(SALU_CYCLE_1) | instskip(SKIP_1) | instid1(VALU_DEP_1)
	v_mul_f64_e64 v[10:11], |s[8:9]|, s[2:3]
	s_mov_b64 s[2:3], 0xbff921fb54442d18
	v_rndne_f64_e32 v[16:17], v[10:11]
	s_delay_alu instid0(VALU_DEP_1) | instskip(SKIP_1) | instid1(VALU_DEP_2)
	v_fma_f64 v[10:11], v[16:17], s[2:3], |s[8:9]|
	v_mul_f64_e32 v[14:15], 0xbc91a62633145c00, v[16:17]
	v_fmamk_f64 v[22:23], v[16:17], 0xbc91a62633145c00, v[10:11]
	s_delay_alu instid0(VALU_DEP_2) | instskip(NEXT) | instid1(VALU_DEP_1)
	v_add_f64_e32 v[18:19], v[10:11], v[14:15]
	v_add_f64_e64 v[20:21], v[10:11], -v[18:19]
	s_delay_alu instid0(VALU_DEP_3) | instskip(NEXT) | instid1(VALU_DEP_2)
	v_add_f64_e64 v[10:11], v[18:19], -v[22:23]
	v_add_f64_e32 v[18:19], v[20:21], v[14:15]
	v_fmamk_f64 v[14:15], v[16:17], 0x3c91a62633145c00, v[14:15]
	s_delay_alu instid0(VALU_DEP_2) | instskip(NEXT) | instid1(VALU_DEP_1)
	v_add_f64_e32 v[10:11], v[10:11], v[18:19]
	v_add_f64_e64 v[10:11], v[10:11], -v[14:15]
	s_delay_alu instid0(VALU_DEP_1) | instskip(NEXT) | instid1(VALU_DEP_1)
	v_fmamk_f64 v[14:15], v[16:17], 0xb97b839a252049c0, v[10:11]
	v_add_f64_e32 v[10:11], v[22:23], v[14:15]
	s_delay_alu instid0(VALU_DEP_1) | instskip(SKIP_1) | instid1(VALU_DEP_2)
	v_add_f64_e64 v[18:19], v[10:11], -v[22:23]
	v_cvt_i32_f64_e32 v22, v[16:17]
	v_add_f64_e64 v[14:15], v[14:15], -v[18:19]
.LBB2_5:
	s_wait_kmcnt 0x0
	v_lshl_add_u64 v[16:17], v[0:1], 3, s[10:11]
	s_and_b32 vcc_lo, exec_lo, s12
	global_load_b64 v[16:17], v[16:17], off
	s_cbranch_vccz .LBB2_7
; %bb.6:
	v_cmp_le_f64_e64 vcc_lo, 0x7b000000, |s[8:9]|
	s_and_b32 s2, s9, 0x7fffffff
	s_mov_b64 s[10:11], 0x3ff921fb54442d18
	v_cndmask_b32_e32 v19, s2, v9, vcc_lo
	v_cndmask_b32_e32 v18, s8, v8, vcc_lo
	s_mov_b32 s2, 0
	s_delay_alu instid0(VALU_DEP_1) | instskip(SKIP_1) | instid1(VALU_DEP_2)
	v_mul_f64_e32 v[20:21], v[6:7], v[18:19]
	v_mul_f64_e32 v[24:25], v[4:5], v[18:19]
	v_fma_f64 v[26:27], v[6:7], v[18:19], -v[20:21]
	s_delay_alu instid0(VALU_DEP_1) | instskip(NEXT) | instid1(VALU_DEP_1)
	v_add_f64_e32 v[28:29], v[24:25], v[26:27]
	v_add_f64_e64 v[30:31], v[28:29], -v[24:25]
	v_add_f64_e32 v[34:35], v[20:21], v[28:29]
	s_delay_alu instid0(VALU_DEP_2) | instskip(SKIP_2) | instid1(VALU_DEP_4)
	v_add_f64_e64 v[32:33], v[28:29], -v[30:31]
	v_fma_f64 v[38:39], v[4:5], v[18:19], -v[24:25]
	v_add_f64_e64 v[26:27], v[26:27], -v[30:31]
	v_ldexp_f64 v[30:31], v[34:35], -2
	v_mul_f64_e32 v[36:37], v[2:3], v[18:19]
	v_add_f64_e64 v[24:25], v[24:25], -v[32:33]
	s_delay_alu instid0(VALU_DEP_3) | instskip(NEXT) | instid1(VALU_DEP_3)
	v_cmp_neq_f64_e64 vcc_lo, 0x7ff00000, |v[30:31]|
	v_add_f64_e32 v[32:33], v[36:37], v[38:39]
	v_fma_f64 v[18:19], v[2:3], v[18:19], -v[36:37]
	s_delay_alu instid0(VALU_DEP_4) | instskip(SKIP_1) | instid1(VALU_DEP_1)
	v_add_f64_e32 v[24:25], v[26:27], v[24:25]
	v_fract_f64_e32 v[26:27], v[30:31]
	v_ldexp_f64 v[26:27], v[26:27], 2
	s_delay_alu instid0(VALU_DEP_1) | instskip(NEXT) | instid1(VALU_DEP_1)
	v_dual_add_f64 v[20:21], v[34:35], -v[20:21] :: v_dual_cndmask_b32 v26, 0, v26, vcc_lo
	v_dual_add_f64 v[20:21], v[28:29], -v[20:21] :: v_dual_cndmask_b32 v27, 0, v27, vcc_lo
	v_add_f64_e32 v[28:29], v[32:33], v[24:25]
	s_delay_alu instid0(VALU_DEP_1) | instskip(SKIP_1) | instid1(VALU_DEP_2)
	v_add_f64_e32 v[30:31], v[20:21], v[28:29]
	v_add_f64_e64 v[40:41], v[28:29], -v[32:33]
	v_add_f64_e32 v[34:35], v[30:31], v[26:27]
	s_delay_alu instid0(VALU_DEP_2) | instskip(SKIP_2) | instid1(VALU_DEP_4)
	v_add_f64_e64 v[46:47], v[28:29], -v[40:41]
	v_add_f64_e64 v[24:25], v[24:25], -v[40:41]
	;; [unrolled: 1-line block ×3, first 2 shown]
	v_cmp_gt_f64_e32 vcc_lo, 0, v[34:35]
	v_add_f64_e64 v[34:35], v[32:33], -v[36:37]
	s_delay_alu instid0(VALU_DEP_3) | instskip(SKIP_2) | instid1(VALU_DEP_2)
	v_add_f64_e64 v[20:21], v[28:29], -v[20:21]
	s_and_b32 s3, vcc_lo, exec_lo
	s_cselect_b32 s3, 0x40100000, 0
	v_add_f64_e64 v[44:45], v[32:33], -v[34:35]
	v_add_f64_e32 v[26:27], s[2:3], v[26:27]
	v_add_f64_e64 v[34:35], v[38:39], -v[34:35]
	v_add_f64_e64 v[32:33], v[32:33], -v[46:47]
	s_delay_alu instid0(VALU_DEP_4) | instskip(NEXT) | instid1(VALU_DEP_4)
	v_add_f64_e64 v[38:39], v[36:37], -v[44:45]
	v_add_f64_e32 v[42:43], v[30:31], v[26:27]
	s_delay_alu instid0(VALU_DEP_3) | instskip(NEXT) | instid1(VALU_DEP_3)
	v_add_f64_e32 v[24:25], v[24:25], v[32:33]
	v_add_f64_e32 v[34:35], v[34:35], v[38:39]
	s_delay_alu instid0(VALU_DEP_3) | instskip(NEXT) | instid1(VALU_DEP_2)
	v_cvt_i32_f64_e32 v23, v[42:43]
	v_add_f64_e32 v[24:25], v[34:35], v[24:25]
	s_delay_alu instid0(VALU_DEP_2) | instskip(SKIP_1) | instid1(VALU_DEP_3)
	v_cvt_f64_i32_e32 v[40:41], v23
	v_readfirstlane_b32 s3, v23
	v_add_f64_e32 v[18:19], v[18:19], v[24:25]
	s_delay_alu instid0(VALU_DEP_3) | instskip(NEXT) | instid1(VALU_DEP_2)
	v_add_f64_e64 v[26:27], v[26:27], -v[40:41]
	v_add_f64_e32 v[18:19], v[20:21], v[18:19]
	s_delay_alu instid0(VALU_DEP_2) | instskip(NEXT) | instid1(VALU_DEP_1)
	v_add_f64_e32 v[32:33], v[30:31], v[26:27]
	v_add_f64_e64 v[24:25], v[32:33], -v[26:27]
	v_cmp_le_f64_e32 vcc_lo, 0.5, v[32:33]
	s_delay_alu instid0(VALU_DEP_2) | instskip(SKIP_4) | instid1(VALU_DEP_1)
	v_add_f64_e64 v[20:21], v[30:31], -v[24:25]
	s_cmp_lg_u32 vcc_lo, 0
	s_add_co_ci_u32 s13, s3, 0
	s_and_b32 s3, vcc_lo, exec_lo
	s_cselect_b32 s3, 0x3ff00000, 0
	v_add_f64_e32 v[18:19], v[18:19], v[20:21]
	v_add_f64_e64 v[20:21], v[32:33], -s[2:3]
	s_delay_alu instid0(VALU_DEP_1) | instskip(NEXT) | instid1(VALU_DEP_1)
	v_add_f64_e32 v[24:25], v[20:21], v[18:19]
	v_mul_f64_e32 v[26:27], 0x3ff921fb54442d18, v[24:25]
	v_add_f64_e64 v[20:21], v[24:25], -v[20:21]
	s_delay_alu instid0(VALU_DEP_2) | instskip(NEXT) | instid1(VALU_DEP_2)
	v_fma_f64 v[28:29], v[24:25], s[10:11], -v[26:27]
	v_add_f64_e64 v[18:19], v[18:19], -v[20:21]
	s_delay_alu instid0(VALU_DEP_2) | instskip(NEXT) | instid1(VALU_DEP_1)
	v_fmamk_f64 v[20:21], v[24:25], 0x3c91a62633145c07, v[28:29]
	v_fmac_f64_e32 v[20:21], 0x3ff921fb54442d18, v[18:19]
	s_delay_alu instid0(VALU_DEP_1) | instskip(NEXT) | instid1(VALU_DEP_1)
	v_add_f64_e32 v[18:19], v[26:27], v[20:21]
	v_add_f64_e64 v[24:25], v[18:19], -v[26:27]
	s_delay_alu instid0(VALU_DEP_1)
	v_add_f64_e64 v[20:21], v[20:21], -v[24:25]
	s_load_b64 s[10:11], s[0:1], 0x0
	s_cbranch_execz .LBB2_8
	s_branch .LBB2_9
.LBB2_7:
                                        ; implicit-def: $sgpr13
                                        ; implicit-def: $vgpr18_vgpr19
                                        ; implicit-def: $vgpr20_vgpr21
	s_load_b64 s[10:11], s[0:1], 0x0
.LBB2_8:
	s_mov_b64 s[2:3], 0x3fe45f306dc9c883
	s_delay_alu instid0(SALU_CYCLE_1) | instskip(SKIP_1) | instid1(VALU_DEP_1)
	v_mul_f64_e64 v[18:19], |s[8:9]|, s[2:3]
	s_mov_b64 s[2:3], 0xbff921fb54442d18
	v_rndne_f64_e32 v[20:21], v[18:19]
	s_delay_alu instid0(VALU_DEP_1) | instskip(SKIP_2) | instid1(VALU_DEP_3)
	v_fma_f64 v[18:19], v[20:21], s[2:3], |s[8:9]|
	v_mul_f64_e32 v[24:25], 0xbc91a62633145c00, v[20:21]
	v_cvt_i32_f64_e32 v23, v[20:21]
	v_fmamk_f64 v[30:31], v[20:21], 0xbc91a62633145c00, v[18:19]
	s_delay_alu instid0(VALU_DEP_3) | instskip(NEXT) | instid1(VALU_DEP_3)
	v_add_f64_e32 v[26:27], v[18:19], v[24:25]
	v_readfirstlane_b32 s13, v23
	s_delay_alu instid0(VALU_DEP_2) | instskip(NEXT) | instid1(VALU_DEP_4)
	v_add_f64_e64 v[28:29], v[18:19], -v[26:27]
	v_add_f64_e64 v[26:27], v[26:27], -v[30:31]
	s_delay_alu instid0(VALU_DEP_2) | instskip(SKIP_1) | instid1(VALU_DEP_2)
	v_add_f64_e32 v[18:19], v[28:29], v[24:25]
	v_fmamk_f64 v[24:25], v[20:21], 0x3c91a62633145c00, v[24:25]
	v_add_f64_e32 v[18:19], v[26:27], v[18:19]
	s_delay_alu instid0(VALU_DEP_1) | instskip(NEXT) | instid1(VALU_DEP_1)
	v_add_f64_e64 v[18:19], v[18:19], -v[24:25]
	v_fmamk_f64 v[24:25], v[20:21], 0xb97b839a252049c0, v[18:19]
	s_delay_alu instid0(VALU_DEP_1) | instskip(NEXT) | instid1(VALU_DEP_1)
	v_add_f64_e32 v[18:19], v[30:31], v[24:25]
	v_add_f64_e64 v[26:27], v[18:19], -v[30:31]
	s_delay_alu instid0(VALU_DEP_1)
	v_add_f64_e64 v[20:21], v[24:25], -v[26:27]
.LBB2_9:
	v_mul_f64_e32 v[24:25], v[10:11], v[10:11]
	v_cmp_class_f64_e64 s2, s[8:9], 0x1f8
	v_mul_f64_e32 v[26:27], v[18:19], v[18:19]
	v_mov_b64_e32 v[28:29], 0xbe5ae600b42fdfa7
	v_mov_b64_e32 v[34:35], 0x3e21eeb69037ab78
	;; [unrolled: 1-line block ×6, first 2 shown]
	s_bitcmp0_b32 s13, 0
	v_mov_b64_e32 v[52:53], 0x3f81111111110bb3
	s_cselect_b32 s3, -1, 0
	v_mul_f64_e32 v[54:55], 0.5, v[20:21]
	s_lshl_b32 s13, s13, 30
	s_wait_loadcnt 0x1
	v_add_f64_e64 v[12:13], v[12:13], -s[4:5]
	v_fmamk_f64 v[30:31], v[24:25], 0x3de5e0b2f9a43bb8, v[28:29]
	v_mul_f64_e32 v[32:33], 0.5, v[24:25]
	v_fmac_f64_e32 v[28:29], 0x3de5e0b2f9a43bb8, v[26:27]
	v_fmamk_f64 v[38:39], v[24:25], 0xbda907db46cc5e42, v[34:35]
	v_fmac_f64_e32 v[34:35], 0xbda907db46cc5e42, v[26:27]
	v_mul_f64_e32 v[40:41], 0.5, v[26:27]
	v_mul_f64_e64 v[46:47], v[10:11], -v[24:25]
	v_fmaak_f64 v[30:31], v[24:25], v[30:31], 0x3ec71de3796cde01
	v_mul_f64_e64 v[56:57], v[18:19], -v[26:27]
	s_delay_alu instid0(VALU_DEP_2) | instskip(NEXT) | instid1(VALU_DEP_1)
	v_fmaak_f64 v[30:31], v[24:25], v[30:31], 0xbf2a01a019e83e5c
	v_fmaak_f64 v[30:31], v[24:25], v[30:31], 0x3f81111111110bb3
	v_fmac_f64_e32 v[36:37], v[26:27], v[28:29]
	v_add_f64_e64 v[28:29], -v[32:33], 1.0
	v_fmac_f64_e32 v[42:43], v[26:27], v[34:35]
	v_add_f64_e64 v[34:35], -v[40:41], 1.0
	s_delay_alu instid0(VALU_DEP_4)
	v_fmac_f64_e32 v[44:45], v[26:27], v[36:37]
	v_mul_f64_e32 v[36:37], 0.5, v[14:15]
	v_add_f64_e64 v[48:49], -v[28:29], 1.0
	v_fmac_f64_e32 v[50:51], v[26:27], v[42:43]
	v_add_f64_e64 v[42:43], -v[34:35], 1.0
	v_fmac_f64_e32 v[52:53], v[26:27], v[44:45]
	v_fmac_f64_e32 v[36:37], v[46:47], v[30:31]
	v_add_f64_e64 v[30:31], v[48:49], -v[32:33]
	v_mov_b64_e32 v[32:33], 0xbf56c16c16c16967
	v_add_f64_e64 v[40:41], v[42:43], -v[40:41]
	v_mul_f64_e32 v[42:43], v[24:25], v[24:25]
	v_mul_f64_e32 v[44:45], v[26:27], v[26:27]
	s_delay_alu instid0(VALU_DEP_4)
	v_fmac_f64_e32 v[32:33], v[26:27], v[50:51]
	v_fmac_f64_e32 v[54:55], v[56:57], v[52:53]
	v_fma_f64 v[36:37], v[24:25], v[36:37], -v[14:15]
	v_fma_f64 v[14:15], v[10:11], -v[14:15], v[30:31]
	v_fmaak_f64 v[30:31], v[24:25], v[38:39], 0xbe927e4fa17f65f6
	v_mov_b64_e32 v[38:39], 0x3fa5555555555555
	s_delay_alu instid0(VALU_DEP_2) | instskip(NEXT) | instid1(VALU_DEP_2)
	v_fmaak_f64 v[30:31], v[24:25], v[30:31], 0x3efa01a019f4ec90
	v_fmac_f64_e32 v[38:39], v[26:27], v[32:33]
	s_delay_alu instid0(VALU_DEP_2) | instskip(NEXT) | instid1(VALU_DEP_1)
	v_fmaak_f64 v[30:31], v[24:25], v[30:31], 0xbf56c16c16c16967
	v_fmaak_f64 v[24:25], v[24:25], v[30:31], 0x3fa5555555555555
	v_fmac_f64_e32 v[36:37], 0xbfc5555555555555, v[46:47]
	s_delay_alu instid0(VALU_DEP_2) | instskip(NEXT) | instid1(VALU_DEP_2)
	v_fmac_f64_e32 v[14:15], v[42:43], v[24:25]
	v_add_f64_e64 v[24:25], v[10:11], -v[36:37]
	s_delay_alu instid0(VALU_DEP_2) | instskip(SKIP_1) | instid1(VALU_DEP_1)
	v_add_f64_e32 v[14:15], v[28:29], v[14:15]
	v_and_b32_e32 v10, 1, v22
	v_cmp_eq_u32_e32 vcc_lo, 0, v10
	s_wait_loadcnt 0x0
	v_add_f64_e64 v[10:11], v[16:17], -s[6:7]
	s_delay_alu instid0(VALU_DEP_4) | instskip(NEXT) | instid1(VALU_DEP_1)
	v_cndmask_b32_e32 v14, v24, v14, vcc_lo
	v_dual_fma_f64 v[32:33], v[18:19], -v[20:21], v[40:41] :: v_dual_cndmask_b32 v14, 0, v14, s2
	v_fma_f64 v[20:21], v[26:27], v[54:55], -v[20:21]
	s_delay_alu instid0(VALU_DEP_2) | instskip(NEXT) | instid1(VALU_DEP_2)
	v_fmac_f64_e32 v[32:33], v[44:45], v[38:39]
	v_fmac_f64_e32 v[20:21], 0xbfc5555555555555, v[56:57]
	s_delay_alu instid0(VALU_DEP_2) | instskip(NEXT) | instid1(VALU_DEP_2)
	v_add_f64_e32 v[26:27], v[34:35], v[32:33]
	v_add_f64_e64 v[18:19], v[18:19], -v[20:21]
	s_delay_alu instid0(VALU_DEP_1)
	v_dual_cndmask_b32 v17, v27, v19, s3 :: v_dual_cndmask_b32 v16, v26, v18, s3
	s_xor_b32 s3, s13, s9
	v_lshlrev_b32_e32 v18, 30, v22
	s_and_b32 s3, s3, 0x80000000
	v_xor_b32_e32 v19, 0x80000000, v25
	v_dual_cndmask_b32 v16, 0, v16, s2 :: v_dual_bitop2_b32 v17, s3, v17 bitop3:0x14
	s_delay_alu instid0(VALU_DEP_3) | instskip(NEXT) | instid1(VALU_DEP_3)
	v_and_b32_e32 v18, 0x80000000, v18
	v_cndmask_b32_e32 v15, v19, v15, vcc_lo
	s_delay_alu instid0(VALU_DEP_3) | instskip(SKIP_1) | instid1(VALU_DEP_2)
	v_cndmask_b32_e64 v17, 0x7ff80000, v17, s2
	s_and_b32 vcc_lo, exec_lo, s12
	v_xor_b32_e32 v15, v15, v18
	s_delay_alu instid0(VALU_DEP_2) | instskip(NEXT) | instid1(VALU_DEP_2)
	v_mul_f64_e32 v[16:17], v[10:11], v[16:17]
	v_cndmask_b32_e64 v15, 0x7ff80000, v15, s2
	s_delay_alu instid0(VALU_DEP_1) | instskip(SKIP_2) | instid1(VALU_DEP_2)
	v_fma_f64 v[14:15], v[12:13], v[14:15], -v[16:17]
	s_wait_kmcnt 0x0
	v_lshl_add_u64 v[16:17], v[0:1], 3, s[10:11]
	v_add_f64_e32 v[14:15], s[4:5], v[14:15]
	s_mov_b32 s4, 0
	global_store_b64 v[16:17], v[14:15], off
	s_cbranch_vccz .LBB2_11
; %bb.10:
	v_cmp_le_f64_e64 vcc_lo, 0x7b000000, |s[8:9]|
	s_and_b32 s3, s9, 0x7fffffff
	s_mov_b64 s[10:11], 0x3ff921fb54442d18
	s_wait_xcnt 0x0
	v_cndmask_b32_e32 v15, s3, v9, vcc_lo
	v_cndmask_b32_e32 v14, s8, v8, vcc_lo
	s_delay_alu instid0(VALU_DEP_1) | instskip(SKIP_1) | instid1(VALU_DEP_2)
	v_mul_f64_e32 v[16:17], v[6:7], v[14:15]
	v_mul_f64_e32 v[18:19], v[4:5], v[14:15]
	v_fma_f64 v[20:21], v[6:7], v[14:15], -v[16:17]
	s_delay_alu instid0(VALU_DEP_1) | instskip(NEXT) | instid1(VALU_DEP_1)
	v_add_f64_e32 v[22:23], v[18:19], v[20:21]
	v_add_f64_e64 v[24:25], v[22:23], -v[18:19]
	v_add_f64_e32 v[28:29], v[16:17], v[22:23]
	v_fma_f64 v[32:33], v[4:5], v[14:15], -v[18:19]
	v_mul_f64_e32 v[30:31], v[2:3], v[14:15]
	s_delay_alu instid0(VALU_DEP_4) | instskip(SKIP_2) | instid1(VALU_DEP_4)
	v_add_f64_e64 v[26:27], v[22:23], -v[24:25]
	v_add_f64_e64 v[20:21], v[20:21], -v[24:25]
	v_ldexp_f64 v[24:25], v[28:29], -2
	v_fma_f64 v[14:15], v[2:3], v[14:15], -v[30:31]
	s_delay_alu instid0(VALU_DEP_4) | instskip(SKIP_1) | instid1(VALU_DEP_4)
	v_add_f64_e64 v[18:19], v[18:19], -v[26:27]
	v_add_f64_e32 v[26:27], v[30:31], v[32:33]
	v_cmp_neq_f64_e64 vcc_lo, 0x7ff00000, |v[24:25]|
	s_delay_alu instid0(VALU_DEP_3) | instskip(SKIP_1) | instid1(VALU_DEP_1)
	v_add_f64_e32 v[18:19], v[20:21], v[18:19]
	v_fract_f64_e32 v[20:21], v[24:25]
	v_ldexp_f64 v[20:21], v[20:21], 2
	s_delay_alu instid0(VALU_DEP_1) | instskip(SKIP_1) | instid1(VALU_DEP_3)
	v_cndmask_b32_e32 v21, 0, v21, vcc_lo
	v_add_f64_e64 v[16:17], v[28:29], -v[16:17]
	v_cndmask_b32_e32 v20, 0, v20, vcc_lo
	s_delay_alu instid0(VALU_DEP_2) | instskip(SKIP_1) | instid1(VALU_DEP_1)
	v_add_f64_e64 v[16:17], v[22:23], -v[16:17]
	v_add_f64_e32 v[22:23], v[26:27], v[18:19]
	v_add_f64_e32 v[24:25], v[16:17], v[22:23]
	v_add_f64_e64 v[34:35], v[22:23], -v[26:27]
	s_delay_alu instid0(VALU_DEP_2) | instskip(NEXT) | instid1(VALU_DEP_2)
	v_add_f64_e32 v[28:29], v[24:25], v[20:21]
	v_add_f64_e64 v[40:41], v[22:23], -v[34:35]
	v_add_f64_e64 v[18:19], v[18:19], -v[34:35]
	;; [unrolled: 1-line block ×3, first 2 shown]
	s_delay_alu instid0(VALU_DEP_4) | instskip(SKIP_1) | instid1(VALU_DEP_3)
	v_cmp_gt_f64_e32 vcc_lo, 0, v[28:29]
	v_add_f64_e64 v[28:29], v[26:27], -v[30:31]
	v_add_f64_e64 v[16:17], v[22:23], -v[16:17]
	s_and_b32 s3, vcc_lo, exec_lo
	s_cselect_b32 s5, 0x40100000, 0
	s_delay_alu instid0(VALU_DEP_2) | instskip(SKIP_3) | instid1(VALU_DEP_4)
	v_add_f64_e64 v[38:39], v[26:27], -v[28:29]
	v_add_f64_e32 v[20:21], s[4:5], v[20:21]
	v_add_f64_e64 v[28:29], v[32:33], -v[28:29]
	v_add_f64_e64 v[26:27], v[26:27], -v[40:41]
	;; [unrolled: 1-line block ×3, first 2 shown]
	s_delay_alu instid0(VALU_DEP_4) | instskip(NEXT) | instid1(VALU_DEP_3)
	v_add_f64_e32 v[36:37], v[24:25], v[20:21]
	v_add_f64_e32 v[18:19], v[18:19], v[26:27]
	s_delay_alu instid0(VALU_DEP_3) | instskip(NEXT) | instid1(VALU_DEP_3)
	v_add_f64_e32 v[28:29], v[28:29], v[32:33]
	v_cvt_i32_f64_e32 v36, v[36:37]
	s_delay_alu instid0(VALU_DEP_2) | instskip(NEXT) | instid1(VALU_DEP_2)
	v_add_f64_e32 v[18:19], v[28:29], v[18:19]
	v_cvt_f64_i32_e32 v[34:35], v36
	v_readfirstlane_b32 s3, v36
	s_delay_alu instid0(VALU_DEP_3) | instskip(NEXT) | instid1(VALU_DEP_3)
	v_add_f64_e32 v[14:15], v[14:15], v[18:19]
	v_add_f64_e64 v[20:21], v[20:21], -v[34:35]
	s_delay_alu instid0(VALU_DEP_2) | instskip(NEXT) | instid1(VALU_DEP_2)
	v_add_f64_e32 v[14:15], v[16:17], v[14:15]
	v_add_f64_e32 v[26:27], v[24:25], v[20:21]
	s_delay_alu instid0(VALU_DEP_1) | instskip(SKIP_1) | instid1(VALU_DEP_2)
	v_add_f64_e64 v[18:19], v[26:27], -v[20:21]
	v_cmp_le_f64_e32 vcc_lo, 0.5, v[26:27]
	v_add_f64_e64 v[16:17], v[24:25], -v[18:19]
	s_cmp_lg_u32 vcc_lo, 0
	s_add_co_ci_u32 s3, s3, 0
	s_and_b32 s5, vcc_lo, exec_lo
	s_cselect_b32 s5, 0x3ff00000, 0
	s_delay_alu instid0(VALU_DEP_1) | instskip(SKIP_1) | instid1(VALU_DEP_1)
	v_add_f64_e32 v[14:15], v[14:15], v[16:17]
	v_add_f64_e64 v[16:17], v[26:27], -s[4:5]
	v_add_f64_e32 v[18:19], v[16:17], v[14:15]
	s_delay_alu instid0(VALU_DEP_1) | instskip(SKIP_1) | instid1(VALU_DEP_2)
	v_mul_f64_e32 v[20:21], 0x3ff921fb54442d18, v[18:19]
	v_add_f64_e64 v[16:17], v[18:19], -v[16:17]
	v_fma_f64 v[22:23], v[18:19], s[10:11], -v[20:21]
	s_delay_alu instid0(VALU_DEP_2) | instskip(NEXT) | instid1(VALU_DEP_2)
	v_add_f64_e64 v[14:15], v[14:15], -v[16:17]
	v_fmamk_f64 v[16:17], v[18:19], 0x3c91a62633145c07, v[22:23]
	s_delay_alu instid0(VALU_DEP_1) | instskip(NEXT) | instid1(VALU_DEP_1)
	v_fmac_f64_e32 v[16:17], 0x3ff921fb54442d18, v[14:15]
	v_add_f64_e32 v[14:15], v[20:21], v[16:17]
	s_delay_alu instid0(VALU_DEP_1) | instskip(NEXT) | instid1(VALU_DEP_1)
	v_add_f64_e64 v[18:19], v[14:15], -v[20:21]
	v_add_f64_e64 v[16:17], v[16:17], -v[18:19]
	s_and_not1_b32 vcc_lo, exec_lo, s4
	s_cbranch_vccz .LBB2_12
	s_branch .LBB2_13
.LBB2_11:
                                        ; implicit-def: $sgpr3
                                        ; implicit-def: $vgpr14_vgpr15
                                        ; implicit-def: $vgpr16_vgpr17
.LBB2_12:
	s_mov_b64 s[4:5], 0x3fe45f306dc9c883
	s_wait_xcnt 0x0
	v_mul_f64_e64 v[14:15], |s[8:9]|, s[4:5]
	s_mov_b64 s[4:5], 0xbff921fb54442d18
	s_delay_alu instid0(VALU_DEP_1) | instskip(NEXT) | instid1(VALU_DEP_1)
	v_rndne_f64_e32 v[16:17], v[14:15]
	v_fma_f64 v[14:15], v[16:17], s[4:5], |s[8:9]|
	v_mul_f64_e32 v[18:19], 0xbc91a62633145c00, v[16:17]
	s_delay_alu instid0(VALU_DEP_2) | instskip(NEXT) | instid1(VALU_DEP_2)
	v_fmamk_f64 v[24:25], v[16:17], 0xbc91a62633145c00, v[14:15]
	v_add_f64_e32 v[20:21], v[14:15], v[18:19]
	s_delay_alu instid0(VALU_DEP_1) | instskip(NEXT) | instid1(VALU_DEP_3)
	v_add_f64_e64 v[22:23], v[14:15], -v[20:21]
	v_add_f64_e64 v[20:21], v[20:21], -v[24:25]
	s_delay_alu instid0(VALU_DEP_2) | instskip(SKIP_2) | instid1(VALU_DEP_3)
	v_add_f64_e32 v[14:15], v[22:23], v[18:19]
	v_fmamk_f64 v[18:19], v[16:17], 0x3c91a62633145c00, v[18:19]
	v_cvt_i32_f64_e32 v22, v[16:17]
	v_add_f64_e32 v[14:15], v[20:21], v[14:15]
	s_delay_alu instid0(VALU_DEP_2) | instskip(NEXT) | instid1(VALU_DEP_2)
	v_readfirstlane_b32 s3, v22
	v_add_f64_e64 v[14:15], v[14:15], -v[18:19]
	s_delay_alu instid0(VALU_DEP_1) | instskip(NEXT) | instid1(VALU_DEP_1)
	v_fmamk_f64 v[18:19], v[16:17], 0xb97b839a252049c0, v[14:15]
	v_add_f64_e32 v[14:15], v[24:25], v[18:19]
	s_delay_alu instid0(VALU_DEP_1) | instskip(NEXT) | instid1(VALU_DEP_1)
	v_add_f64_e64 v[20:21], v[14:15], -v[24:25]
	v_add_f64_e64 v[16:17], v[18:19], -v[20:21]
.LBB2_13:
	s_and_b32 vcc_lo, exec_lo, s12
	s_cbranch_vccz .LBB2_15
; %bb.14:
	v_cmp_le_f64_e64 vcc_lo, 0x7b000000, |s[8:9]|
	s_and_b32 s4, s9, 0x7fffffff
	s_mov_b64 s[10:11], 0x3ff921fb54442d18
	v_cndmask_b32_e32 v9, s4, v9, vcc_lo
	v_cndmask_b32_e32 v8, s8, v8, vcc_lo
	s_mov_b32 s4, 0
	s_delay_alu instid0(VALU_DEP_1) | instskip(SKIP_1) | instid1(VALU_DEP_2)
	v_mul_f64_e32 v[18:19], v[6:7], v[8:9]
	v_mul_f64_e32 v[20:21], v[4:5], v[8:9]
	v_fma_f64 v[6:7], v[6:7], v[8:9], -v[18:19]
	s_delay_alu instid0(VALU_DEP_1) | instskip(NEXT) | instid1(VALU_DEP_1)
	v_add_f64_e32 v[22:23], v[20:21], v[6:7]
	v_add_f64_e64 v[24:25], v[22:23], -v[20:21]
	v_add_f64_e32 v[28:29], v[18:19], v[22:23]
	v_fma_f64 v[4:5], v[4:5], v[8:9], -v[20:21]
	v_mul_f64_e32 v[30:31], v[2:3], v[8:9]
	s_delay_alu instid0(VALU_DEP_4) | instskip(SKIP_2) | instid1(VALU_DEP_4)
	v_add_f64_e64 v[26:27], v[22:23], -v[24:25]
	v_add_f64_e64 v[6:7], v[6:7], -v[24:25]
	v_ldexp_f64 v[24:25], v[28:29], -2
	v_fma_f64 v[2:3], v[2:3], v[8:9], -v[30:31]
	s_delay_alu instid0(VALU_DEP_4) | instskip(SKIP_1) | instid1(VALU_DEP_4)
	v_add_f64_e64 v[20:21], v[20:21], -v[26:27]
	v_add_f64_e32 v[26:27], v[30:31], v[4:5]
	v_cmp_neq_f64_e64 vcc_lo, 0x7ff00000, |v[24:25]|
	s_delay_alu instid0(VALU_DEP_3) | instskip(SKIP_1) | instid1(VALU_DEP_1)
	v_add_f64_e32 v[6:7], v[6:7], v[20:21]
	v_fract_f64_e32 v[20:21], v[24:25]
	v_ldexp_f64 v[20:21], v[20:21], 2
	s_delay_alu instid0(VALU_DEP_1) | instskip(NEXT) | instid1(VALU_DEP_1)
	v_dual_add_f64 v[18:19], v[28:29], -v[18:19] :: v_dual_cndmask_b32 v21, 0, v21, vcc_lo
	v_dual_add_f64 v[18:19], v[22:23], -v[18:19] :: v_dual_cndmask_b32 v20, 0, v20, vcc_lo
	v_add_f64_e32 v[22:23], v[26:27], v[6:7]
	s_delay_alu instid0(VALU_DEP_1) | instskip(SKIP_1) | instid1(VALU_DEP_2)
	v_add_f64_e32 v[24:25], v[18:19], v[22:23]
	v_add_f64_e64 v[32:33], v[22:23], -v[26:27]
	v_add_f64_e32 v[28:29], v[24:25], v[20:21]
	s_delay_alu instid0(VALU_DEP_2) | instskip(SKIP_2) | instid1(VALU_DEP_4)
	v_add_f64_e64 v[38:39], v[22:23], -v[32:33]
	v_add_f64_e64 v[6:7], v[6:7], -v[32:33]
	;; [unrolled: 1-line block ×3, first 2 shown]
	v_cmp_gt_f64_e32 vcc_lo, 0, v[28:29]
	v_add_f64_e64 v[28:29], v[26:27], -v[30:31]
	s_and_b32 s5, vcc_lo, exec_lo
	s_cselect_b32 s5, 0x40100000, 0
	s_delay_alu instid0(VALU_DEP_1) | instskip(SKIP_3) | instid1(VALU_DEP_4)
	v_add_f64_e64 v[36:37], v[26:27], -v[28:29]
	v_add_f64_e32 v[20:21], s[4:5], v[20:21]
	v_add_f64_e64 v[4:5], v[4:5], -v[28:29]
	v_add_f64_e64 v[26:27], v[26:27], -v[38:39]
	;; [unrolled: 1-line block ×3, first 2 shown]
	s_delay_alu instid0(VALU_DEP_4) | instskip(NEXT) | instid1(VALU_DEP_3)
	v_add_f64_e32 v[34:35], v[24:25], v[20:21]
	v_add_f64_e32 v[6:7], v[6:7], v[26:27]
	s_delay_alu instid0(VALU_DEP_3) | instskip(NEXT) | instid1(VALU_DEP_3)
	v_add_f64_e32 v[4:5], v[4:5], v[28:29]
	v_cvt_i32_f64_e32 v34, v[34:35]
	s_delay_alu instid0(VALU_DEP_2) | instskip(NEXT) | instid1(VALU_DEP_2)
	v_add_f64_e32 v[4:5], v[4:5], v[6:7]
	v_cvt_f64_i32_e32 v[32:33], v34
	v_add_f64_e64 v[6:7], v[22:23], -v[8:9]
	s_delay_alu instid0(VALU_DEP_3) | instskip(NEXT) | instid1(VALU_DEP_3)
	v_add_f64_e32 v[2:3], v[2:3], v[4:5]
	v_add_f64_e64 v[20:21], v[20:21], -v[32:33]
	s_delay_alu instid0(VALU_DEP_2) | instskip(NEXT) | instid1(VALU_DEP_2)
	v_add_f64_e32 v[2:3], v[6:7], v[2:3]
	v_add_f64_e32 v[18:19], v[24:25], v[20:21]
	s_delay_alu instid0(VALU_DEP_1) | instskip(SKIP_1) | instid1(VALU_DEP_2)
	v_add_f64_e64 v[4:5], v[18:19], -v[20:21]
	v_cmp_le_f64_e32 vcc_lo, 0.5, v[18:19]
	v_add_f64_e64 v[4:5], v[24:25], -v[4:5]
	s_and_b32 s5, vcc_lo, exec_lo
	s_cselect_b32 s5, 0x3ff00000, 0
	v_add_co_ci_u32_e64 v6, null, 0, v34, vcc_lo
	s_delay_alu instid0(VALU_DEP_2) | instskip(SKIP_1) | instid1(VALU_DEP_1)
	v_add_f64_e32 v[2:3], v[2:3], v[4:5]
	v_add_f64_e64 v[4:5], v[18:19], -s[4:5]
	v_add_f64_e32 v[8:9], v[4:5], v[2:3]
	s_delay_alu instid0(VALU_DEP_1) | instskip(SKIP_1) | instid1(VALU_DEP_2)
	v_mul_f64_e32 v[18:19], 0x3ff921fb54442d18, v[8:9]
	v_add_f64_e64 v[4:5], v[8:9], -v[4:5]
	v_fma_f64 v[20:21], v[8:9], s[10:11], -v[18:19]
	s_delay_alu instid0(VALU_DEP_2) | instskip(NEXT) | instid1(VALU_DEP_2)
	v_add_f64_e64 v[2:3], v[2:3], -v[4:5]
	v_fmamk_f64 v[4:5], v[8:9], 0x3c91a62633145c07, v[20:21]
	s_delay_alu instid0(VALU_DEP_1) | instskip(NEXT) | instid1(VALU_DEP_1)
	v_fmac_f64_e32 v[4:5], 0x3ff921fb54442d18, v[2:3]
	v_add_f64_e32 v[2:3], v[18:19], v[4:5]
	s_delay_alu instid0(VALU_DEP_1) | instskip(NEXT) | instid1(VALU_DEP_1)
	v_add_f64_e64 v[8:9], v[2:3], -v[18:19]
	v_add_f64_e64 v[4:5], v[4:5], -v[8:9]
	s_load_b64 s[0:1], s[0:1], 0x8
	s_cbranch_execz .LBB2_16
	s_branch .LBB2_17
.LBB2_15:
                                        ; implicit-def: $vgpr6
                                        ; implicit-def: $vgpr2_vgpr3
                                        ; implicit-def: $vgpr4_vgpr5
	s_load_b64 s[0:1], s[0:1], 0x8
.LBB2_16:
	s_mov_b64 s[4:5], 0x3fe45f306dc9c883
	s_delay_alu instid0(SALU_CYCLE_1) | instskip(SKIP_1) | instid1(VALU_DEP_1)
	v_mul_f64_e64 v[2:3], |s[8:9]|, s[4:5]
	s_mov_b64 s[4:5], 0xbff921fb54442d18
	v_rndne_f64_e32 v[6:7], v[2:3]
	s_delay_alu instid0(VALU_DEP_1) | instskip(SKIP_1) | instid1(VALU_DEP_2)
	v_fma_f64 v[2:3], v[6:7], s[4:5], |s[8:9]|
	v_mul_f64_e32 v[4:5], 0xbc91a62633145c00, v[6:7]
	v_fmamk_f64 v[20:21], v[6:7], 0xbc91a62633145c00, v[2:3]
	s_delay_alu instid0(VALU_DEP_2) | instskip(NEXT) | instid1(VALU_DEP_1)
	v_add_f64_e32 v[8:9], v[2:3], v[4:5]
	v_add_f64_e64 v[18:19], v[2:3], -v[8:9]
	s_delay_alu instid0(VALU_DEP_3) | instskip(NEXT) | instid1(VALU_DEP_2)
	v_add_f64_e64 v[2:3], v[8:9], -v[20:21]
	v_add_f64_e32 v[8:9], v[18:19], v[4:5]
	v_fmamk_f64 v[4:5], v[6:7], 0x3c91a62633145c00, v[4:5]
	s_delay_alu instid0(VALU_DEP_2) | instskip(NEXT) | instid1(VALU_DEP_1)
	v_add_f64_e32 v[2:3], v[2:3], v[8:9]
	v_add_f64_e64 v[2:3], v[2:3], -v[4:5]
	s_delay_alu instid0(VALU_DEP_1) | instskip(SKIP_1) | instid1(VALU_DEP_2)
	v_fmamk_f64 v[4:5], v[6:7], 0xb97b839a252049c0, v[2:3]
	v_cvt_i32_f64_e32 v6, v[6:7]
	v_add_f64_e32 v[2:3], v[20:21], v[4:5]
	s_delay_alu instid0(VALU_DEP_1) | instskip(NEXT) | instid1(VALU_DEP_1)
	v_add_f64_e64 v[8:9], v[2:3], -v[20:21]
	v_add_f64_e64 v[4:5], v[4:5], -v[8:9]
.LBB2_17:
	v_mul_f64_e32 v[8:9], v[14:15], v[14:15]
	v_mul_f64_e32 v[18:19], v[2:3], v[2:3]
	v_mov_b64_e32 v[20:21], 0xbe5ae600b42fdfa7
	v_mov_b64_e32 v[24:25], 0x3ec71de3796cde01
	v_mov_b64_e32 v[30:31], 0xbf2a01a019e83e5c
	v_mov_b64_e32 v[26:27], 0x3e21eeb69037ab78
	v_mov_b64_e32 v[32:33], 0xbe927e4fa17f65f6
	v_mov_b64_e32 v[34:35], 0x3f81111111110bb3
	v_mov_b64_e32 v[36:37], 0x3efa01a019f4ec90
	v_mul_f64_e32 v[38:39], 0.5, v[4:5]
	v_mov_b64_e32 v[42:43], 0xbf56c16c16c16967
	s_bitcmp0_b32 s3, 0
	s_wait_kmcnt 0x0
	v_lshl_add_u64 v[0:1], v[0:1], 3, s[0:1]
	v_and_b32_e32 v7, 1, v6
	s_delay_alu instid0(VALU_DEP_1) | instskip(SKIP_4) | instid1(VALU_DEP_4)
	v_cmp_eq_u32_e32 vcc_lo, 0, v7
	v_fmamk_f64 v[22:23], v[8:9], 0x3de5e0b2f9a43bb8, v[20:21]
	v_fmac_f64_e32 v[20:21], 0x3de5e0b2f9a43bb8, v[18:19]
	v_mul_f64_e32 v[28:29], 0.5, v[18:19]
	v_mul_f64_e64 v[40:41], v[2:3], -v[18:19]
	v_fmaak_f64 v[22:23], v[8:9], v[22:23], 0x3ec71de3796cde01
	s_delay_alu instid0(VALU_DEP_1) | instskip(NEXT) | instid1(VALU_DEP_1)
	v_fmaak_f64 v[22:23], v[8:9], v[22:23], 0xbf2a01a019e83e5c
	v_fmaak_f64 v[22:23], v[8:9], v[22:23], 0x3f81111111110bb3
	v_fmac_f64_e32 v[24:25], v[18:19], v[20:21]
	v_fmamk_f64 v[20:21], v[8:9], 0xbda907db46cc5e42, v[26:27]
	v_fmac_f64_e32 v[26:27], 0xbda907db46cc5e42, v[18:19]
	s_delay_alu instid0(VALU_DEP_2) | instskip(NEXT) | instid1(VALU_DEP_1)
	v_fmaak_f64 v[20:21], v[8:9], v[20:21], 0xbe927e4fa17f65f6
	v_fmaak_f64 v[20:21], v[8:9], v[20:21], 0x3efa01a019f4ec90
	s_delay_alu instid0(VALU_DEP_1) | instskip(SKIP_4) | instid1(VALU_DEP_4)
	v_fmaak_f64 v[20:21], v[8:9], v[20:21], 0xbf56c16c16c16967
	v_fmac_f64_e32 v[30:31], v[18:19], v[24:25]
	v_mul_f64_e32 v[24:25], 0.5, v[8:9]
	v_fmac_f64_e32 v[32:33], v[18:19], v[26:27]
	v_add_f64_e64 v[26:27], -v[28:29], 1.0
	v_fmac_f64_e32 v[34:35], v[18:19], v[30:31]
	s_delay_alu instid0(VALU_DEP_4) | instskip(NEXT) | instid1(VALU_DEP_4)
	v_add_f64_e64 v[30:31], -v[24:25], 1.0
	v_fmac_f64_e32 v[36:37], v[18:19], v[32:33]
	s_delay_alu instid0(VALU_DEP_4) | instskip(NEXT) | instid1(VALU_DEP_4)
	;; [unrolled: 3-line block ×3, first 2 shown]
	v_add_f64_e64 v[46:47], -v[30:31], 1.0
	v_fmac_f64_e32 v[42:43], v[18:19], v[36:37]
	v_mul_f64_e32 v[36:37], v[18:19], v[18:19]
	v_add_f64_e64 v[28:29], v[32:33], -v[28:29]
	v_mov_b64_e32 v[32:33], 0x3fa5555555555555
	v_fma_f64 v[38:39], v[18:19], v[38:39], -v[4:5]
	s_delay_alu instid0(VALU_DEP_2) | instskip(SKIP_2) | instid1(VALU_DEP_4)
	v_fmac_f64_e32 v[32:33], v[18:19], v[42:43]
	v_mul_f64_e32 v[18:19], v[8:9], v[8:9]
	v_fma_f64 v[4:5], v[2:3], -v[4:5], v[28:29]
	v_fmac_f64_e32 v[38:39], 0xbfc5555555555555, v[40:41]
	s_delay_alu instid0(VALU_DEP_2) | instskip(NEXT) | instid1(VALU_DEP_2)
	v_fmac_f64_e32 v[4:5], v[36:37], v[32:33]
	v_add_f64_e64 v[2:3], v[2:3], -v[38:39]
	s_delay_alu instid0(VALU_DEP_2) | instskip(NEXT) | instid1(VALU_DEP_2)
	v_add_f64_e32 v[4:5], v[26:27], v[4:5]
	v_xor_b32_e32 v3, 0x80000000, v3
	s_delay_alu instid0(VALU_DEP_2) | instskip(SKIP_1) | instid1(VALU_DEP_3)
	v_cndmask_b32_e32 v2, v2, v4, vcc_lo
	v_mul_f64_e32 v[44:45], 0.5, v[16:17]
	v_cndmask_b32_e32 v3, v3, v5, vcc_lo
	s_cselect_b32 vcc_lo, -1, 0
	v_mul_f64_e64 v[34:35], v[14:15], -v[8:9]
	s_lshl_b32 s3, s3, 30
	v_cndmask_b32_e64 v2, 0, v2, s2
	s_xor_b32 s3, s3, s9
	s_delay_alu instid0(SALU_CYCLE_1) | instskip(NEXT) | instid1(VALU_DEP_2)
	s_and_b32 s3, s3, 0x80000000
	v_fmac_f64_e32 v[44:45], v[34:35], v[22:23]
	v_add_f64_e64 v[22:23], v[46:47], -v[24:25]
	s_delay_alu instid0(VALU_DEP_2) | instskip(NEXT) | instid1(VALU_DEP_2)
	v_fma_f64 v[24:25], v[8:9], v[44:45], -v[16:17]
	v_fma_f64 v[16:17], v[14:15], -v[16:17], v[22:23]
	v_fmaak_f64 v[8:9], v[8:9], v[20:21], 0x3fa5555555555555
	s_delay_alu instid0(VALU_DEP_3) | instskip(NEXT) | instid1(VALU_DEP_2)
	v_fmac_f64_e32 v[24:25], 0xbfc5555555555555, v[34:35]
	v_fmac_f64_e32 v[16:17], v[18:19], v[8:9]
	v_lshlrev_b32_e32 v18, 30, v6
	s_delay_alu instid0(VALU_DEP_1) | instskip(NEXT) | instid1(VALU_DEP_1)
	v_and_b32_e32 v4, 0x80000000, v18
	v_xor_b32_e32 v3, v3, v4
	s_delay_alu instid0(VALU_DEP_1) | instskip(NEXT) | instid1(VALU_DEP_1)
	v_cndmask_b32_e64 v3, 0x7ff80000, v3, s2
	v_mul_f64_e32 v[2:3], v[10:11], v[2:3]
	v_add_f64_e64 v[6:7], v[14:15], -v[24:25]
	v_add_f64_e32 v[8:9], v[30:31], v[16:17]
	s_delay_alu instid0(VALU_DEP_1) | instskip(NEXT) | instid1(VALU_DEP_1)
	v_dual_cndmask_b32 v5, v9, v7 :: v_dual_cndmask_b32 v4, v8, v6
	v_dual_cndmask_b32 v4, 0, v4, s2 :: v_dual_bitop2_b32 v5, s3, v5 bitop3:0x14
	s_delay_alu instid0(VALU_DEP_1) | instskip(NEXT) | instid1(VALU_DEP_1)
	v_cndmask_b32_e64 v5, 0x7ff80000, v5, s2
	v_fmac_f64_e32 v[2:3], v[12:13], v[4:5]
	s_delay_alu instid0(VALU_DEP_1)
	v_add_f64_e32 v[2:3], s[6:7], v[2:3]
	global_store_b64 v[0:1], v[2:3], off
.LBB2_18:
	s_endpgm
	.section	.rodata,"a",@progbits
	.p2align	6, 0x0
	.amdhsa_kernel _Z19rot_detector_kernelPdS_PKdS1_dddi
		.amdhsa_group_segment_fixed_size 0
		.amdhsa_private_segment_fixed_size 0
		.amdhsa_kernarg_size 320
		.amdhsa_user_sgpr_count 2
		.amdhsa_user_sgpr_dispatch_ptr 0
		.amdhsa_user_sgpr_queue_ptr 0
		.amdhsa_user_sgpr_kernarg_segment_ptr 1
		.amdhsa_user_sgpr_dispatch_id 0
		.amdhsa_user_sgpr_kernarg_preload_length 0
		.amdhsa_user_sgpr_kernarg_preload_offset 0
		.amdhsa_user_sgpr_private_segment_size 0
		.amdhsa_wavefront_size32 1
		.amdhsa_uses_dynamic_stack 0
		.amdhsa_enable_private_segment 0
		.amdhsa_system_sgpr_workgroup_id_x 1
		.amdhsa_system_sgpr_workgroup_id_y 0
		.amdhsa_system_sgpr_workgroup_id_z 0
		.amdhsa_system_sgpr_workgroup_info 0
		.amdhsa_system_vgpr_workitem_id 0
		.amdhsa_next_free_vgpr 58
		.amdhsa_next_free_sgpr 14
		.amdhsa_named_barrier_count 0
		.amdhsa_reserve_vcc 1
		.amdhsa_float_round_mode_32 0
		.amdhsa_float_round_mode_16_64 0
		.amdhsa_float_denorm_mode_32 3
		.amdhsa_float_denorm_mode_16_64 3
		.amdhsa_fp16_overflow 0
		.amdhsa_memory_ordered 1
		.amdhsa_forward_progress 1
		.amdhsa_inst_pref_size 38
		.amdhsa_round_robin_scheduling 0
		.amdhsa_exception_fp_ieee_invalid_op 0
		.amdhsa_exception_fp_denorm_src 0
		.amdhsa_exception_fp_ieee_div_zero 0
		.amdhsa_exception_fp_ieee_overflow 0
		.amdhsa_exception_fp_ieee_underflow 0
		.amdhsa_exception_fp_ieee_inexact 0
		.amdhsa_exception_int_div_zero 0
	.end_amdhsa_kernel
	.text
.Lfunc_end2:
	.size	_Z19rot_detector_kernelPdS_PKdS1_dddi, .Lfunc_end2-_Z19rot_detector_kernelPdS_PKdS1_dddi
                                        ; -- End function
	.set _Z19rot_detector_kernelPdS_PKdS1_dddi.num_vgpr, 58
	.set _Z19rot_detector_kernelPdS_PKdS1_dddi.num_agpr, 0
	.set _Z19rot_detector_kernelPdS_PKdS1_dddi.numbered_sgpr, 14
	.set _Z19rot_detector_kernelPdS_PKdS1_dddi.num_named_barrier, 0
	.set _Z19rot_detector_kernelPdS_PKdS1_dddi.private_seg_size, 0
	.set _Z19rot_detector_kernelPdS_PKdS1_dddi.uses_vcc, 1
	.set _Z19rot_detector_kernelPdS_PKdS1_dddi.uses_flat_scratch, 0
	.set _Z19rot_detector_kernelPdS_PKdS1_dddi.has_dyn_sized_stack, 0
	.set _Z19rot_detector_kernelPdS_PKdS1_dddi.has_recursion, 0
	.set _Z19rot_detector_kernelPdS_PKdS1_dddi.has_indirect_call, 0
	.section	.AMDGPU.csdata,"",@progbits
; Kernel info:
; codeLenInByte = 4756
; TotalNumSgprs: 16
; NumVgprs: 58
; ScratchSize: 0
; MemoryBound: 0
; FloatMode: 240
; IeeeMode: 1
; LDSByteSize: 0 bytes/workgroup (compile time only)
; SGPRBlocks: 0
; VGPRBlocks: 3
; NumSGPRsForWavesPerEU: 16
; NumVGPRsForWavesPerEU: 58
; NamedBarCnt: 0
; Occupancy: 16
; WaveLimiterHint : 0
; COMPUTE_PGM_RSRC2:SCRATCH_EN: 0
; COMPUTE_PGM_RSRC2:USER_SGPR: 2
; COMPUTE_PGM_RSRC2:TRAP_HANDLER: 0
; COMPUTE_PGM_RSRC2:TGID_X_EN: 1
; COMPUTE_PGM_RSRC2:TGID_Y_EN: 0
; COMPUTE_PGM_RSRC2:TGID_Z_EN: 0
; COMPUTE_PGM_RSRC2:TIDIG_COMP_CNT: 0
	.text
	.protected	_Z19mapDet2Slice_kernelPdS_dddPKdS1_S1_S1_iii ; -- Begin function _Z19mapDet2Slice_kernelPdS_dddPKdS1_S1_S1_iii
	.globl	_Z19mapDet2Slice_kernelPdS_dddPKdS1_S1_S1_iii
	.p2align	8
	.type	_Z19mapDet2Slice_kernelPdS_dddPKdS1_S1_S1_iii,@function
_Z19mapDet2Slice_kernelPdS_dddPKdS1_S1_S1_iii: ; @_Z19mapDet2Slice_kernelPdS_dddPKdS1_S1_S1_iii
; %bb.0:
	s_clause 0x1
	s_load_b32 s2, s[0:1], 0x64
	s_load_b96 s[12:14], s[0:1], 0x48
	s_bfe_u32 s4, ttmp6, 0x4000c
	s_bfe_u32 s5, ttmp6, 0x40010
	s_add_co_i32 s4, s4, 1
	s_add_co_i32 s5, s5, 1
	s_and_b32 s3, ttmp6, 15
	s_bfe_u32 s6, ttmp6, 0x40004
	s_mul_i32 s4, ttmp9, s4
	s_mul_i32 s5, ttmp7, s5
	s_getreg_b32 s7, hwreg(HW_REG_IB_STS2, 6, 4)
	v_and_b32_e32 v1, 0x3ff, v0
	v_bfe_u32 v2, v0, 10, 10
	s_add_co_i32 s3, s3, s4
	s_add_co_i32 s6, s6, s5
	s_wait_kmcnt 0x0
	s_lshr_b32 s4, s2, 16
	s_and_b32 s2, s2, 0xffff
	s_cmp_eq_u32 s7, 0
	s_cselect_b32 s3, ttmp9, s3
	s_cselect_b32 s5, ttmp7, s6
	v_mad_u32 v0, s3, s2, v1
	v_mad_u32 v1, s5, s4, v2
	s_delay_alu instid0(VALU_DEP_2) | instskip(NEXT) | instid1(VALU_DEP_2)
	v_cmp_gt_i32_e32 vcc_lo, s13, v0
	v_cmp_gt_i32_e64 s2, s12, v1
	s_and_b32 s2, vcc_lo, s2
	s_delay_alu instid0(SALU_CYCLE_1)
	s_and_saveexec_b32 s3, s2
	s_cbranch_execz .LBB3_3
; %bb.1:
	s_clause 0x1
	s_load_b256 s[4:11], s[0:1], 0x10
	s_load_b128 s[16:19], s[0:1], 0x38
	s_ashr_i32 s3, s14, 31
	s_mov_b32 s2, s14
	s_wait_kmcnt 0x0
	global_load_b64 v[8:9], v1, s[10:11] scale_offset
	global_load_b64 v[2:3], v0, s[16:17] scale_offset
	s_lshl_b64 s[2:3], s[2:3], 3
	s_delay_alu instid0(SALU_CYCLE_1)
	s_add_nc_u64 s[2:3], s[18:19], s[2:3]
	s_load_b64 s[2:3], s[2:3], 0x0
	s_wait_loadcnt 0x1
	v_add_f64_e64 v[4:5], v[8:9], -s[4:5]
	s_wait_loadcnt 0x0
	s_wait_kmcnt 0x0
	v_add_f64_e64 v[6:7], s[2:3], -v[2:3]
	v_mul_f64_e32 v[10:11], s[8:9], v[8:9]
	s_load_b64 s[2:3], s[0:1], 0x0
	s_delay_alu instid0(VALU_DEP_1) | instskip(SKIP_1) | instid1(VALU_DEP_2)
	v_fma_f64 v[10:11], v[4:5], v[6:7], -v[10:11]
	v_add_f64_e64 v[4:5], v[2:3], -s[8:9]
	v_fmac_f64_e32 v[10:11], v[8:9], v[2:3]
	s_delay_alu instid0(VALU_DEP_1) | instskip(NEXT) | instid1(VALU_DEP_1)
	v_div_scale_f64 v[8:9], null, v[4:5], v[4:5], v[10:11]
	v_rcp_f64_e32 v[12:13], v[8:9]
	v_nop
	s_delay_alu instid0(TRANS32_DEP_1) | instskip(NEXT) | instid1(VALU_DEP_1)
	v_fma_f64 v[14:15], -v[8:9], v[12:13], 1.0
	v_fmac_f64_e32 v[12:13], v[12:13], v[14:15]
	s_delay_alu instid0(VALU_DEP_1) | instskip(NEXT) | instid1(VALU_DEP_1)
	v_fma_f64 v[14:15], -v[8:9], v[12:13], 1.0
	v_fmac_f64_e32 v[12:13], v[12:13], v[14:15]
	v_div_scale_f64 v[14:15], vcc_lo, v[10:11], v[4:5], v[10:11]
	s_delay_alu instid0(VALU_DEP_1) | instskip(NEXT) | instid1(VALU_DEP_1)
	v_mul_f64_e32 v[16:17], v[14:15], v[12:13]
	v_fma_f64 v[8:9], -v[8:9], v[16:17], v[14:15]
	s_delay_alu instid0(VALU_DEP_1) | instskip(SKIP_1) | instid1(VALU_DEP_2)
	v_div_fmas_f64 v[8:9], v[8:9], v[12:13], v[16:17]
	v_cmp_eq_u32_e32 vcc_lo, 0, v1
	v_div_fixup_f64 v[8:9], v[8:9], v[4:5], v[10:11]
	v_mad_u32 v10, v1, s13, v0
	s_wait_kmcnt 0x0
	global_store_b64 v10, v[8:9], s[2:3] scale_offset
	s_wait_xcnt 0x0
	s_and_b32 exec_lo, exec_lo, vcc_lo
	s_cbranch_execz .LBB3_3
; %bb.2:
	s_load_b64 s[2:3], s[0:1], 0x30
	v_ashrrev_i32_e32 v1, 31, v0
	s_wait_xcnt 0x0
	s_load_b64 s[0:1], s[0:1], 0x8
	s_delay_alu instid0(VALU_DEP_1) | instskip(SKIP_1) | instid1(VALU_DEP_1)
	v_lshlrev_b64_e32 v[0:1], 3, v[0:1]
	s_wait_kmcnt 0x0
	v_add_nc_u64_e32 v[8:9], s[2:3], v[0:1]
	v_add_nc_u64_e32 v[0:1], s[0:1], v[0:1]
	global_load_b64 v[8:9], v[8:9], off
	s_wait_loadcnt 0x0
	v_add_f64_e64 v[10:11], v[8:9], -s[6:7]
	v_mul_f64_e32 v[12:13], s[8:9], v[8:9]
	s_delay_alu instid0(VALU_DEP_1) | instskip(NEXT) | instid1(VALU_DEP_1)
	v_fma_f64 v[6:7], v[6:7], v[10:11], -v[12:13]
	v_fmac_f64_e32 v[6:7], v[2:3], v[8:9]
	s_delay_alu instid0(VALU_DEP_1) | instskip(SKIP_1) | instid1(VALU_DEP_1)
	v_div_scale_f64 v[2:3], null, v[4:5], v[4:5], v[6:7]
	s_wait_xcnt 0x0
	v_rcp_f64_e32 v[8:9], v[2:3]
	v_nop
	s_delay_alu instid0(TRANS32_DEP_1) | instskip(NEXT) | instid1(VALU_DEP_1)
	v_fma_f64 v[10:11], -v[2:3], v[8:9], 1.0
	v_fmac_f64_e32 v[8:9], v[8:9], v[10:11]
	s_delay_alu instid0(VALU_DEP_1) | instskip(NEXT) | instid1(VALU_DEP_1)
	v_fma_f64 v[10:11], -v[2:3], v[8:9], 1.0
	v_fmac_f64_e32 v[8:9], v[8:9], v[10:11]
	v_div_scale_f64 v[10:11], vcc_lo, v[6:7], v[4:5], v[6:7]
	s_delay_alu instid0(VALU_DEP_1) | instskip(NEXT) | instid1(VALU_DEP_1)
	v_mul_f64_e32 v[12:13], v[10:11], v[8:9]
	v_fma_f64 v[2:3], -v[2:3], v[12:13], v[10:11]
	s_delay_alu instid0(VALU_DEP_1) | instskip(NEXT) | instid1(VALU_DEP_1)
	v_div_fmas_f64 v[2:3], v[2:3], v[8:9], v[12:13]
	v_div_fixup_f64 v[2:3], v[2:3], v[4:5], v[6:7]
	global_store_b64 v[0:1], v[2:3], off
.LBB3_3:
	s_endpgm
	.section	.rodata,"a",@progbits
	.p2align	6, 0x0
	.amdhsa_kernel _Z19mapDet2Slice_kernelPdS_dddPKdS1_S1_S1_iii
		.amdhsa_group_segment_fixed_size 0
		.amdhsa_private_segment_fixed_size 0
		.amdhsa_kernarg_size 344
		.amdhsa_user_sgpr_count 2
		.amdhsa_user_sgpr_dispatch_ptr 0
		.amdhsa_user_sgpr_queue_ptr 0
		.amdhsa_user_sgpr_kernarg_segment_ptr 1
		.amdhsa_user_sgpr_dispatch_id 0
		.amdhsa_user_sgpr_kernarg_preload_length 0
		.amdhsa_user_sgpr_kernarg_preload_offset 0
		.amdhsa_user_sgpr_private_segment_size 0
		.amdhsa_wavefront_size32 1
		.amdhsa_uses_dynamic_stack 0
		.amdhsa_enable_private_segment 0
		.amdhsa_system_sgpr_workgroup_id_x 1
		.amdhsa_system_sgpr_workgroup_id_y 1
		.amdhsa_system_sgpr_workgroup_id_z 0
		.amdhsa_system_sgpr_workgroup_info 0
		.amdhsa_system_vgpr_workitem_id 1
		.amdhsa_next_free_vgpr 18
		.amdhsa_next_free_sgpr 20
		.amdhsa_named_barrier_count 0
		.amdhsa_reserve_vcc 1
		.amdhsa_float_round_mode_32 0
		.amdhsa_float_round_mode_16_64 0
		.amdhsa_float_denorm_mode_32 3
		.amdhsa_float_denorm_mode_16_64 3
		.amdhsa_fp16_overflow 0
		.amdhsa_memory_ordered 1
		.amdhsa_forward_progress 1
		.amdhsa_inst_pref_size 6
		.amdhsa_round_robin_scheduling 0
		.amdhsa_exception_fp_ieee_invalid_op 0
		.amdhsa_exception_fp_denorm_src 0
		.amdhsa_exception_fp_ieee_div_zero 0
		.amdhsa_exception_fp_ieee_overflow 0
		.amdhsa_exception_fp_ieee_underflow 0
		.amdhsa_exception_fp_ieee_inexact 0
		.amdhsa_exception_int_div_zero 0
	.end_amdhsa_kernel
	.text
.Lfunc_end3:
	.size	_Z19mapDet2Slice_kernelPdS_dddPKdS1_S1_S1_iii, .Lfunc_end3-_Z19mapDet2Slice_kernelPdS_dddPKdS1_S1_S1_iii
                                        ; -- End function
	.set _Z19mapDet2Slice_kernelPdS_dddPKdS1_S1_S1_iii.num_vgpr, 18
	.set _Z19mapDet2Slice_kernelPdS_dddPKdS1_S1_S1_iii.num_agpr, 0
	.set _Z19mapDet2Slice_kernelPdS_dddPKdS1_S1_S1_iii.numbered_sgpr, 20
	.set _Z19mapDet2Slice_kernelPdS_dddPKdS1_S1_S1_iii.num_named_barrier, 0
	.set _Z19mapDet2Slice_kernelPdS_dddPKdS1_S1_S1_iii.private_seg_size, 0
	.set _Z19mapDet2Slice_kernelPdS_dddPKdS1_S1_S1_iii.uses_vcc, 1
	.set _Z19mapDet2Slice_kernelPdS_dddPKdS1_S1_S1_iii.uses_flat_scratch, 0
	.set _Z19mapDet2Slice_kernelPdS_dddPKdS1_S1_S1_iii.has_dyn_sized_stack, 0
	.set _Z19mapDet2Slice_kernelPdS_dddPKdS1_S1_S1_iii.has_recursion, 0
	.set _Z19mapDet2Slice_kernelPdS_dddPKdS1_S1_S1_iii.has_indirect_call, 0
	.section	.AMDGPU.csdata,"",@progbits
; Kernel info:
; codeLenInByte = 648
; TotalNumSgprs: 22
; NumVgprs: 18
; ScratchSize: 0
; MemoryBound: 0
; FloatMode: 240
; IeeeMode: 1
; LDSByteSize: 0 bytes/workgroup (compile time only)
; SGPRBlocks: 0
; VGPRBlocks: 1
; NumSGPRsForWavesPerEU: 22
; NumVGPRsForWavesPerEU: 18
; NamedBarCnt: 0
; Occupancy: 16
; WaveLimiterHint : 0
; COMPUTE_PGM_RSRC2:SCRATCH_EN: 0
; COMPUTE_PGM_RSRC2:USER_SGPR: 2
; COMPUTE_PGM_RSRC2:TRAP_HANDLER: 0
; COMPUTE_PGM_RSRC2:TGID_X_EN: 1
; COMPUTE_PGM_RSRC2:TGID_Y_EN: 1
; COMPUTE_PGM_RSRC2:TGID_Z_EN: 0
; COMPUTE_PGM_RSRC2:TIDIG_COMP_CNT: 1
	.text
	.protected	_Z22img_integration_kernelPdiibiii ; -- Begin function _Z22img_integration_kernelPdiibiii
	.globl	_Z22img_integration_kernelPdiibiii
	.p2align	8
	.type	_Z22img_integration_kernelPdiibiii,@function
_Z22img_integration_kernelPdiibiii:     ; @_Z22img_integration_kernelPdiibiii
; %bb.0:
	s_load_b64 s[2:3], s[0:1], 0x2c
	s_bfe_u32 s10, ttmp6, 0x40014
	s_bfe_u32 s14, ttmp6, 0x40010
	s_lshr_b32 s12, ttmp7, 16
	s_bfe_u32 s17, ttmp6, 0x4000c
	s_add_co_i32 s10, s10, 1
	s_and_b32 s13, ttmp7, 0xffff
	s_add_co_i32 s14, s14, 1
	s_bfe_u32 s11, ttmp6, 0x40008
	s_clause 0x1
	s_load_b128 s[4:7], s[0:1], 0x8
	s_load_b64 s[8:9], s[0:1], 0x18
	s_add_co_i32 s17, s17, 1
	s_mul_i32 s10, s12, s10
	s_bfe_u32 s15, ttmp6, 0x40004
	s_mul_i32 s14, s13, s14
	s_and_b32 s16, ttmp6, 15
	s_add_co_i32 s18, s11, s10
	s_add_co_i32 s15, s15, s14
	s_getreg_b32 s14, hwreg(HW_REG_IB_STS2, 6, 4)
	v_and_b32_e32 v1, 0x3ff, v0
	v_bfe_u32 v2, v0, 10, 10
	s_wait_kmcnt 0x0
	s_lshr_b32 s10, s2, 16
	s_and_b32 s11, s2, 0xffff
	s_mul_i32 s2, ttmp9, s17
	s_and_b32 s3, s3, 0xffff
	s_add_co_i32 s16, s16, s2
	s_cmp_eq_u32 s14, 0
	v_bfe_u32 v0, v0, 20, 10
	s_cselect_b32 s2, ttmp9, s16
	s_cselect_b32 s13, s13, s15
	v_mad_u32 v6, s2, s11, v1
	v_mad_u32 v2, s13, s10, v2
	s_cselect_b32 s2, s12, s18
	s_delay_alu instid0(SALU_CYCLE_1) | instskip(NEXT) | instid1(VALU_DEP_3)
	v_mad_u32 v5, s2, s3, v0
	v_add_nc_u32_e32 v3, s7, v6
	s_delay_alu instid0(VALU_DEP_3) | instskip(NEXT) | instid1(VALU_DEP_3)
	v_add_nc_u32_e32 v4, s8, v2
	v_cmp_gt_i32_e64 s3, s9, v5
	s_delay_alu instid0(VALU_DEP_3) | instskip(NEXT) | instid1(VALU_DEP_3)
	v_cmp_gt_i32_e32 vcc_lo, s5, v3
	v_cmp_gt_i32_e64 s2, s4, v4
	s_and_b32 s2, vcc_lo, s2
	s_delay_alu instid0(SALU_CYCLE_1) | instskip(NEXT) | instid1(SALU_CYCLE_1)
	s_and_b32 s2, s3, s2
	s_and_saveexec_b32 s3, s2
	s_cbranch_execz .LBB4_13
; %bb.1:
	s_load_b64 s[0:1], s[0:1], 0x0
	s_bitcmp1_b32 s6, 0
	s_cselect_b32 s2, -1, 0
	s_delay_alu instid0(SALU_CYCLE_1)
	s_and_b32 vcc_lo, exec_lo, s2
	s_mov_b32 s2, -1
	s_cbranch_vccnz .LBB4_7
; %bb.2:
	s_cmp_eq_u32 s11, 0
	s_mov_b32 s2, 0
	s_cbranch_scc1 .LBB4_7
; %bb.3:
	v_mad_u32 v0, v5, s4, v4
	s_mov_b32 s3, 1
	s_delay_alu instid0(VALU_DEP_1) | instskip(NEXT) | instid1(VALU_DEP_1)
	v_mul_lo_u32 v7, v0, s5
	v_add_nc_u32_e32 v0, v7, v3
	s_delay_alu instid0(VALU_DEP_1) | instskip(SKIP_1) | instid1(VALU_DEP_1)
	v_dual_add_nc_u32 v7, s7, v7 :: v_dual_ashrrev_i32 v1, 31, v0
	s_wait_kmcnt 0x0
	v_lshl_add_u64 v[0:1], v[0:1], 3, s[0:1]
	s_branch .LBB4_5
.LBB4_4:                                ;   in Loop: Header=BB4_5 Depth=1
	s_wait_xcnt 0x0
	s_or_b32 exec_lo, exec_lo, s6
	s_lshl_b32 s3, s3, 1
	s_delay_alu instid0(SALU_CYCLE_1)
	s_cmp_le_u32 s3, s11
	s_cbranch_scc0 .LBB4_7
.LBB4_5:                                ; =>This Inner Loop Header: Depth=1
	v_subrev_nc_u32_e32 v8, s3, v6
	s_mov_b32 s6, exec_lo
	s_delay_alu instid0(VALU_DEP_1)
	v_cmpx_lt_i32_e32 -1, v8
	s_cbranch_execz .LBB4_4
; %bb.6:                                ;   in Loop: Header=BB4_5 Depth=1
	v_add_nc_u32_e32 v12, v7, v8
	s_clause 0x1
	global_load_b64 v[8:9], v12, s[0:1] scale_offset
	global_load_b64 v[10:11], v[0:1], off
	s_wait_loadcnt 0x0
	v_add_f64_e32 v[8:9], v[8:9], v[10:11]
	global_store_b64 v[0:1], v[8:9], off
	s_branch .LBB4_4
.LBB4_7:
	s_and_not1_b32 vcc_lo, exec_lo, s2
	s_cbranch_vccnz .LBB4_13
; %bb.8:
	s_cmp_eq_u32 s10, 0
	s_cbranch_scc1 .LBB4_13
; %bb.9:
	v_mul_lo_u32 v0, s5, v5
	s_mov_b32 s2, 1
	s_delay_alu instid0(VALU_DEP_1) | instskip(NEXT) | instid1(VALU_DEP_1)
	v_mad_u32 v3, v0, s4, v3
	v_mad_u32 v0, v4, s5, v3
	s_delay_alu instid0(VALU_DEP_1) | instskip(SKIP_1) | instid1(VALU_DEP_1)
	v_ashrrev_i32_e32 v1, 31, v0
	s_wait_kmcnt 0x0
	v_lshl_add_u64 v[0:1], v[0:1], 3, s[0:1]
	s_branch .LBB4_11
.LBB4_10:                               ;   in Loop: Header=BB4_11 Depth=1
	s_wait_xcnt 0x0
	s_or_b32 exec_lo, exec_lo, s3
	s_lshl_b32 s2, s2, 1
	s_delay_alu instid0(SALU_CYCLE_1)
	s_cmp_gt_u32 s2, s10
	s_cbranch_scc1 .LBB4_13
.LBB4_11:                               ; =>This Inner Loop Header: Depth=1
	v_subrev_nc_u32_e32 v4, s2, v2
	s_mov_b32 s3, exec_lo
	s_delay_alu instid0(VALU_DEP_1)
	v_cmpx_lt_i32_e32 -1, v4
	s_cbranch_execz .LBB4_10
; %bb.12:                               ;   in Loop: Header=BB4_11 Depth=1
	v_add_nc_u32_e32 v4, s8, v4
	s_delay_alu instid0(VALU_DEP_1)
	v_mad_u32 v8, v4, s5, v3
	s_clause 0x1
	global_load_b64 v[4:5], v8, s[0:1] scale_offset
	global_load_b64 v[6:7], v[0:1], off
	s_wait_loadcnt 0x0
	v_add_f64_e32 v[4:5], v[4:5], v[6:7]
	global_store_b64 v[0:1], v[4:5], off
	s_branch .LBB4_10
.LBB4_13:
	s_endpgm
	.section	.rodata,"a",@progbits
	.p2align	6, 0x0
	.amdhsa_kernel _Z22img_integration_kernelPdiibiii
		.amdhsa_group_segment_fixed_size 0
		.amdhsa_private_segment_fixed_size 0
		.amdhsa_kernarg_size 288
		.amdhsa_user_sgpr_count 2
		.amdhsa_user_sgpr_dispatch_ptr 0
		.amdhsa_user_sgpr_queue_ptr 0
		.amdhsa_user_sgpr_kernarg_segment_ptr 1
		.amdhsa_user_sgpr_dispatch_id 0
		.amdhsa_user_sgpr_kernarg_preload_length 0
		.amdhsa_user_sgpr_kernarg_preload_offset 0
		.amdhsa_user_sgpr_private_segment_size 0
		.amdhsa_wavefront_size32 1
		.amdhsa_uses_dynamic_stack 0
		.amdhsa_enable_private_segment 0
		.amdhsa_system_sgpr_workgroup_id_x 1
		.amdhsa_system_sgpr_workgroup_id_y 1
		.amdhsa_system_sgpr_workgroup_id_z 1
		.amdhsa_system_sgpr_workgroup_info 0
		.amdhsa_system_vgpr_workitem_id 2
		.amdhsa_next_free_vgpr 13
		.amdhsa_next_free_sgpr 19
		.amdhsa_named_barrier_count 0
		.amdhsa_reserve_vcc 1
		.amdhsa_float_round_mode_32 0
		.amdhsa_float_round_mode_16_64 0
		.amdhsa_float_denorm_mode_32 3
		.amdhsa_float_denorm_mode_16_64 3
		.amdhsa_fp16_overflow 0
		.amdhsa_memory_ordered 1
		.amdhsa_forward_progress 1
		.amdhsa_inst_pref_size 6
		.amdhsa_round_robin_scheduling 0
		.amdhsa_exception_fp_ieee_invalid_op 0
		.amdhsa_exception_fp_denorm_src 0
		.amdhsa_exception_fp_ieee_div_zero 0
		.amdhsa_exception_fp_ieee_overflow 0
		.amdhsa_exception_fp_ieee_underflow 0
		.amdhsa_exception_fp_ieee_inexact 0
		.amdhsa_exception_int_div_zero 0
	.end_amdhsa_kernel
	.text
.Lfunc_end4:
	.size	_Z22img_integration_kernelPdiibiii, .Lfunc_end4-_Z22img_integration_kernelPdiibiii
                                        ; -- End function
	.set _Z22img_integration_kernelPdiibiii.num_vgpr, 13
	.set _Z22img_integration_kernelPdiibiii.num_agpr, 0
	.set _Z22img_integration_kernelPdiibiii.numbered_sgpr, 19
	.set _Z22img_integration_kernelPdiibiii.num_named_barrier, 0
	.set _Z22img_integration_kernelPdiibiii.private_seg_size, 0
	.set _Z22img_integration_kernelPdiibiii.uses_vcc, 1
	.set _Z22img_integration_kernelPdiibiii.uses_flat_scratch, 0
	.set _Z22img_integration_kernelPdiibiii.has_dyn_sized_stack, 0
	.set _Z22img_integration_kernelPdiibiii.has_recursion, 0
	.set _Z22img_integration_kernelPdiibiii.has_indirect_call, 0
	.section	.AMDGPU.csdata,"",@progbits
; Kernel info:
; codeLenInByte = 664
; TotalNumSgprs: 21
; NumVgprs: 13
; ScratchSize: 0
; MemoryBound: 0
; FloatMode: 240
; IeeeMode: 1
; LDSByteSize: 0 bytes/workgroup (compile time only)
; SGPRBlocks: 0
; VGPRBlocks: 0
; NumSGPRsForWavesPerEU: 21
; NumVGPRsForWavesPerEU: 13
; NamedBarCnt: 0
; Occupancy: 16
; WaveLimiterHint : 0
; COMPUTE_PGM_RSRC2:SCRATCH_EN: 0
; COMPUTE_PGM_RSRC2:USER_SGPR: 2
; COMPUTE_PGM_RSRC2:TRAP_HANDLER: 0
; COMPUTE_PGM_RSRC2:TGID_X_EN: 1
; COMPUTE_PGM_RSRC2:TGID_Y_EN: 1
; COMPUTE_PGM_RSRC2:TGID_Z_EN: 1
; COMPUTE_PGM_RSRC2:TIDIG_COMP_CNT: 2
	.text
	.protected	_Z29bilinear_interpolation_kernelPdPKdS1_S1_S1_S1_iiiiiii ; -- Begin function _Z29bilinear_interpolation_kernelPdPKdS1_S1_S1_S1_iiiiiii
	.globl	_Z29bilinear_interpolation_kernelPdPKdS1_S1_S1_S1_iiiiiii
	.p2align	8
	.type	_Z29bilinear_interpolation_kernelPdPKdS1_S1_S1_S1_iiiiiii,@function
_Z29bilinear_interpolation_kernelPdPKdS1_S1_S1_S1_iiiiiii: ; @_Z29bilinear_interpolation_kernelPdPKdS1_S1_S1_S1_iiiiiii
; %bb.0:
	s_clause 0x1
	s_load_b32 s2, s[0:1], 0x5c
	s_load_b128 s[16:19], s[0:1], 0x30
	s_bfe_u32 s4, ttmp6, 0x4000c
	s_bfe_u32 s5, ttmp6, 0x40010
	s_add_co_i32 s4, s4, 1
	s_add_co_i32 s5, s5, 1
	s_and_b32 s3, ttmp6, 15
	s_bfe_u32 s6, ttmp6, 0x40004
	s_mul_i32 s4, ttmp9, s4
	s_mul_i32 s5, ttmp7, s5
	s_getreg_b32 s7, hwreg(HW_REG_IB_STS2, 6, 4)
	v_and_b32_e32 v1, 0x3ff, v0
	v_bfe_u32 v0, v0, 10, 10
	s_add_co_i32 s3, s3, s4
	s_add_co_i32 s6, s6, s5
	s_wait_kmcnt 0x0
	s_lshr_b32 s4, s2, 16
	s_and_b32 s2, s2, 0xffff
	s_cmp_eq_u32 s7, 0
	s_cselect_b32 s3, ttmp9, s3
	s_cselect_b32 s5, ttmp7, s6
	v_mad_u32 v12, s3, s2, v1
	v_mad_u32 v13, s5, s4, v0
	s_delay_alu instid0(VALU_DEP_2) | instskip(NEXT) | instid1(VALU_DEP_2)
	v_cmp_gt_i32_e32 vcc_lo, s17, v12
	v_cmp_gt_i32_e64 s2, s16, v13
	s_and_b32 s2, vcc_lo, s2
	s_delay_alu instid0(SALU_CYCLE_1)
	s_and_saveexec_b32 s3, s2
	s_cbranch_execz .LBB5_14
; %bb.1:
	s_load_b256 s[8:15], s[0:1], 0x8
	s_wait_kmcnt 0x0
	global_load_b64 v[0:1], v13, s[10:11] scale_offset
	global_load_b64 v[2:3], v12, s[12:13] scale_offset
	s_load_b64 s[2:3], s[0:1], 0x28
	s_load_b64 s[4:5], s[14:15], 0x0
	s_load_b96 s[20:22], s[0:1], 0x40
	s_wait_loadcnt 0x1
	s_wait_kmcnt 0x0
	v_div_scale_f64 v[4:5], null, s[4:5], s[4:5], v[0:1]
	s_load_b64 s[6:7], s[2:3], 0x0
	s_wait_loadcnt 0x0
	v_div_scale_f64 v[6:7], null, s[4:5], s[4:5], v[2:3]
	v_div_scale_f64 v[24:25], vcc_lo, v[0:1], s[4:5], v[0:1]
	s_wait_kmcnt 0x0
	v_div_scale_f64 v[8:9], null, s[4:5], s[4:5], s[6:7]
	v_rcp_f64_e32 v[10:11], v[4:5]
	s_delay_alu instid0(VALU_DEP_3) | instskip(NEXT) | instid1(VALU_DEP_1)
	v_rcp_f64_e32 v[14:15], v[6:7]
	v_rcp_f64_e32 v[16:17], v[8:9]
	s_delay_alu instid0(TRANS32_DEP_3) | instskip(NEXT) | instid1(TRANS32_DEP_2)
	v_fma_f64 v[18:19], -v[4:5], v[10:11], 1.0
	v_fma_f64 v[20:21], -v[6:7], v[14:15], 1.0
	s_delay_alu instid0(TRANS32_DEP_1) | instskip(NEXT) | instid1(VALU_DEP_3)
	v_fma_f64 v[22:23], -v[8:9], v[16:17], 1.0
	v_fmac_f64_e32 v[10:11], v[10:11], v[18:19]
	s_delay_alu instid0(VALU_DEP_3) | instskip(NEXT) | instid1(VALU_DEP_3)
	v_fmac_f64_e32 v[14:15], v[14:15], v[20:21]
	v_fmac_f64_e32 v[16:17], v[16:17], v[22:23]
	s_delay_alu instid0(VALU_DEP_3) | instskip(NEXT) | instid1(VALU_DEP_3)
	v_fma_f64 v[18:19], -v[4:5], v[10:11], 1.0
	v_fma_f64 v[20:21], -v[6:7], v[14:15], 1.0
	s_delay_alu instid0(VALU_DEP_3) | instskip(NEXT) | instid1(VALU_DEP_3)
	v_fma_f64 v[22:23], -v[8:9], v[16:17], 1.0
	v_fmac_f64_e32 v[10:11], v[10:11], v[18:19]
	v_div_scale_f64 v[18:19], s2, v[2:3], s[4:5], v[2:3]
	s_delay_alu instid0(VALU_DEP_4) | instskip(SKIP_3) | instid1(VALU_DEP_4)
	v_fmac_f64_e32 v[14:15], v[14:15], v[20:21]
	v_div_scale_f64 v[20:21], s3, s[6:7], s[4:5], s[6:7]
	v_fmac_f64_e32 v[16:17], v[16:17], v[22:23]
	v_mul_f64_e32 v[22:23], v[24:25], v[10:11]
	v_mul_f64_e32 v[26:27], v[18:19], v[14:15]
	s_delay_alu instid0(VALU_DEP_3) | instskip(NEXT) | instid1(VALU_DEP_3)
	v_mul_f64_e32 v[28:29], v[20:21], v[16:17]
	v_fma_f64 v[4:5], -v[4:5], v[22:23], v[24:25]
	s_delay_alu instid0(VALU_DEP_3) | instskip(NEXT) | instid1(VALU_DEP_3)
	v_fma_f64 v[6:7], -v[6:7], v[26:27], v[18:19]
	v_fma_f64 v[8:9], -v[8:9], v[28:29], v[20:21]
	s_delay_alu instid0(VALU_DEP_3) | instskip(SKIP_1) | instid1(VALU_DEP_3)
	v_div_fmas_f64 v[4:5], v[4:5], v[10:11], v[22:23]
	s_mov_b32 vcc_lo, s2
	v_div_fmas_f64 v[6:7], v[6:7], v[14:15], v[26:27]
	s_mov_b32 vcc_lo, s3
	s_delay_alu instid0(VALU_DEP_3) | instskip(SKIP_1) | instid1(VALU_DEP_4)
	v_div_fmas_f64 v[10:11], v[8:9], v[16:17], v[28:29]
	v_cvt_f64_i32_e32 v[8:9], s20
	v_div_fixup_f64 v[0:1], v[4:5], s[4:5], v[0:1]
	s_delay_alu instid0(VALU_DEP_4) | instskip(NEXT) | instid1(VALU_DEP_4)
	v_div_fixup_f64 v[4:5], v[6:7], s[4:5], v[2:3]
	v_div_fixup_f64 v[6:7], v[10:11], s[4:5], s[6:7]
	v_cvt_f64_i32_e32 v[10:11], s21
	s_delay_alu instid0(VALU_DEP_4) | instskip(NEXT) | instid1(VALU_DEP_3)
	v_add_f64_e64 v[2:3], v[8:9], -v[0:1]
	v_add_f64_e64 v[0:1], v[4:5], -v[6:7]
	s_delay_alu instid0(VALU_DEP_2) | instskip(SKIP_1) | instid1(VALU_DEP_3)
	v_floor_f64_e32 v[4:5], v[2:3]
	v_cmp_le_f64_e32 vcc_lo, 0, v[2:3]
	v_floor_f64_e32 v[6:7], v[0:1]
	s_delay_alu instid0(VALU_DEP_3) | instskip(SKIP_1) | instid1(VALU_DEP_3)
	v_cvt_i32_f64_e32 v15, v[4:5]
	v_mov_b64_e32 v[4:5], 0
	v_cvt_i32_f64_e32 v14, v[6:7]
	v_mov_b64_e32 v[6:7], 0
	s_and_saveexec_b32 s5, vcc_lo
	s_cbranch_execz .LBB5_5
; %bb.2:
	v_cmp_le_f64_e64 s2, v[2:3], v[8:9]
	v_cmp_le_f64_e64 s3, v[0:1], v[10:11]
	;; [unrolled: 1-line block ×3, first 2 shown]
	v_mov_b64_e32 v[6:7], 0
	s_and_b32 s2, s2, s3
	s_delay_alu instid0(SALU_CYCLE_1) | instskip(NEXT) | instid1(SALU_CYCLE_1)
	s_and_b32 s3, s2, s4
	s_and_saveexec_b32 s2, s3
	s_cbranch_execz .LBB5_4
; %bb.3:
	v_mad_u32 v6, s22, s18, v15
	s_delay_alu instid0(VALU_DEP_1)
	v_mad_u32 v6, v6, s19, v14
	global_load_b64 v[6:7], v6, s[8:9] scale_offset
.LBB5_4:
	s_wait_xcnt 0x0
	s_or_b32 exec_lo, exec_lo, s2
.LBB5_5:
	s_delay_alu instid0(SALU_CYCLE_1) | instskip(NEXT) | instid1(VALU_DEP_4)
	s_or_b32 exec_lo, exec_lo, s5
	v_add_nc_u32_e32 v16, 1, v15
	v_cmp_lt_i32_e64 s2, -1, v15
	s_and_saveexec_b32 s6, s2
	s_cbranch_execz .LBB5_9
; %bb.6:
	v_cmp_le_f64_e64 s3, 0, v[0:1]
	v_cmp_le_f64_e64 s4, v[0:1], v[10:11]
	v_cmp_gt_i32_e64 s5, s20, v15
	v_mov_b64_e32 v[4:5], 0
	s_and_b32 s3, s5, s3
	s_delay_alu instid0(SALU_CYCLE_1) | instskip(NEXT) | instid1(SALU_CYCLE_1)
	s_and_b32 s4, s4, s3
	s_and_saveexec_b32 s3, s4
	s_cbranch_execz .LBB5_8
; %bb.7:
	v_mad_u32 v4, s22, s18, v16
	s_delay_alu instid0(VALU_DEP_1)
	v_mad_u32 v4, v4, s19, v14
	global_load_b64 v[4:5], v4, s[8:9] scale_offset
.LBB5_8:
	s_wait_xcnt 0x0
	s_or_b32 exec_lo, exec_lo, s3
.LBB5_9:
	s_delay_alu instid0(SALU_CYCLE_1)
	s_or_b32 exec_lo, exec_lo, s6
	v_cmp_le_f64_e64 s3, v[2:3], v[8:9]
	s_load_b64 s[4:5], s[0:1], 0x0
	s_wait_xcnt 0x0
	v_cmp_lt_i32_e64 s0, -1, v14
	v_cmp_gt_i32_e64 s1, s21, v14
	v_mov_b64_e32 v[8:9], 0
	v_mov_b64_e32 v[10:11], 0
	s_and_b32 s0, s0, s1
	s_and_b32 s3, vcc_lo, s3
	s_delay_alu instid0(SALU_CYCLE_1) | instskip(NEXT) | instid1(SALU_CYCLE_1)
	s_and_b32 s3, s3, s0
	s_and_saveexec_b32 s1, s3
	s_cbranch_execz .LBB5_11
; %bb.10:
	v_mad_u32 v10, s22, s18, v15
	s_delay_alu instid0(VALU_DEP_1) | instskip(NEXT) | instid1(VALU_DEP_1)
	v_mul_lo_u32 v10, v10, s19
	v_add3_u32 v10, v14, v10, 1
	global_load_b64 v[10:11], v10, s[8:9] scale_offset
.LBB5_11:
	s_wait_xcnt 0x0
	s_or_b32 exec_lo, exec_lo, s1
	v_cmp_gt_i32_e32 vcc_lo, s20, v15
	s_and_b32 s1, s2, vcc_lo
	s_delay_alu instid0(SALU_CYCLE_1) | instskip(NEXT) | instid1(SALU_CYCLE_1)
	s_and_b32 s1, s1, s0
	s_and_saveexec_b32 s0, s1
	s_cbranch_execz .LBB5_13
; %bb.12:
	v_mad_u32 v8, s22, s18, v16
	s_delay_alu instid0(VALU_DEP_1) | instskip(NEXT) | instid1(VALU_DEP_1)
	v_mul_lo_u32 v8, v8, s19
	v_add3_u32 v8, v14, v8, 1
	global_load_b64 v[8:9], v8, s[8:9] scale_offset
.LBB5_13:
	s_wait_xcnt 0x0
	s_or_b32 exec_lo, exec_lo, s0
	v_cvt_f64_i32_e32 v[16:17], v15
	v_cvt_f64_i32_e32 v[14:15], v14
	s_delay_alu instid0(VALU_DEP_2) | instskip(NEXT) | instid1(VALU_DEP_2)
	v_add_f64_e64 v[2:3], v[2:3], -v[16:17]
	v_add_f64_e64 v[0:1], v[0:1], -v[14:15]
	s_wait_loadcnt 0x0
	s_delay_alu instid0(VALU_DEP_2) | instskip(SKIP_1) | instid1(VALU_DEP_2)
	v_fma_f64 v[6:7], -v[2:3], v[6:7], v[6:7]
	v_fma_f64 v[10:11], -v[2:3], v[10:11], v[10:11]
	v_fmac_f64_e32 v[6:7], v[2:3], v[4:5]
	s_delay_alu instid0(VALU_DEP_2) | instskip(NEXT) | instid1(VALU_DEP_2)
	v_fmac_f64_e32 v[10:11], v[2:3], v[8:9]
	v_fma_f64 v[2:3], -v[0:1], v[6:7], v[6:7]
	s_delay_alu instid0(VALU_DEP_1)
	v_fmac_f64_e32 v[2:3], v[0:1], v[10:11]
	v_mad_u32 v0, v13, s17, v12
	s_wait_kmcnt 0x0
	global_store_b64 v0, v[2:3], s[4:5] scale_offset
.LBB5_14:
	s_endpgm
	.section	.rodata,"a",@progbits
	.p2align	6, 0x0
	.amdhsa_kernel _Z29bilinear_interpolation_kernelPdPKdS1_S1_S1_S1_iiiiiii
		.amdhsa_group_segment_fixed_size 0
		.amdhsa_private_segment_fixed_size 0
		.amdhsa_kernarg_size 336
		.amdhsa_user_sgpr_count 2
		.amdhsa_user_sgpr_dispatch_ptr 0
		.amdhsa_user_sgpr_queue_ptr 0
		.amdhsa_user_sgpr_kernarg_segment_ptr 1
		.amdhsa_user_sgpr_dispatch_id 0
		.amdhsa_user_sgpr_kernarg_preload_length 0
		.amdhsa_user_sgpr_kernarg_preload_offset 0
		.amdhsa_user_sgpr_private_segment_size 0
		.amdhsa_wavefront_size32 1
		.amdhsa_uses_dynamic_stack 0
		.amdhsa_enable_private_segment 0
		.amdhsa_system_sgpr_workgroup_id_x 1
		.amdhsa_system_sgpr_workgroup_id_y 1
		.amdhsa_system_sgpr_workgroup_id_z 0
		.amdhsa_system_sgpr_workgroup_info 0
		.amdhsa_system_vgpr_workitem_id 1
		.amdhsa_next_free_vgpr 30
		.amdhsa_next_free_sgpr 23
		.amdhsa_named_barrier_count 0
		.amdhsa_reserve_vcc 1
		.amdhsa_float_round_mode_32 0
		.amdhsa_float_round_mode_16_64 0
		.amdhsa_float_denorm_mode_32 3
		.amdhsa_float_denorm_mode_16_64 3
		.amdhsa_fp16_overflow 0
		.amdhsa_memory_ordered 1
		.amdhsa_forward_progress 1
		.amdhsa_inst_pref_size 9
		.amdhsa_round_robin_scheduling 0
		.amdhsa_exception_fp_ieee_invalid_op 0
		.amdhsa_exception_fp_denorm_src 0
		.amdhsa_exception_fp_ieee_div_zero 0
		.amdhsa_exception_fp_ieee_overflow 0
		.amdhsa_exception_fp_ieee_underflow 0
		.amdhsa_exception_fp_ieee_inexact 0
		.amdhsa_exception_int_div_zero 0
	.end_amdhsa_kernel
	.text
.Lfunc_end5:
	.size	_Z29bilinear_interpolation_kernelPdPKdS1_S1_S1_S1_iiiiiii, .Lfunc_end5-_Z29bilinear_interpolation_kernelPdPKdS1_S1_S1_S1_iiiiiii
                                        ; -- End function
	.set _Z29bilinear_interpolation_kernelPdPKdS1_S1_S1_S1_iiiiiii.num_vgpr, 30
	.set _Z29bilinear_interpolation_kernelPdPKdS1_S1_S1_S1_iiiiiii.num_agpr, 0
	.set _Z29bilinear_interpolation_kernelPdPKdS1_S1_S1_S1_iiiiiii.numbered_sgpr, 23
	.set _Z29bilinear_interpolation_kernelPdPKdS1_S1_S1_S1_iiiiiii.num_named_barrier, 0
	.set _Z29bilinear_interpolation_kernelPdPKdS1_S1_S1_S1_iiiiiii.private_seg_size, 0
	.set _Z29bilinear_interpolation_kernelPdPKdS1_S1_S1_S1_iiiiiii.uses_vcc, 1
	.set _Z29bilinear_interpolation_kernelPdPKdS1_S1_S1_S1_iiiiiii.uses_flat_scratch, 0
	.set _Z29bilinear_interpolation_kernelPdPKdS1_S1_S1_S1_iiiiiii.has_dyn_sized_stack, 0
	.set _Z29bilinear_interpolation_kernelPdPKdS1_S1_S1_S1_iiiiiii.has_recursion, 0
	.set _Z29bilinear_interpolation_kernelPdPKdS1_S1_S1_S1_iiiiiii.has_indirect_call, 0
	.section	.AMDGPU.csdata,"",@progbits
; Kernel info:
; codeLenInByte = 1104
; TotalNumSgprs: 25
; NumVgprs: 30
; ScratchSize: 0
; MemoryBound: 0
; FloatMode: 240
; IeeeMode: 1
; LDSByteSize: 0 bytes/workgroup (compile time only)
; SGPRBlocks: 0
; VGPRBlocks: 1
; NumSGPRsForWavesPerEU: 25
; NumVGPRsForWavesPerEU: 30
; NamedBarCnt: 0
; Occupancy: 16
; WaveLimiterHint : 0
; COMPUTE_PGM_RSRC2:SCRATCH_EN: 0
; COMPUTE_PGM_RSRC2:USER_SGPR: 2
; COMPUTE_PGM_RSRC2:TRAP_HANDLER: 0
; COMPUTE_PGM_RSRC2:TGID_X_EN: 1
; COMPUTE_PGM_RSRC2:TGID_Y_EN: 1
; COMPUTE_PGM_RSRC2:TGID_Z_EN: 0
; COMPUTE_PGM_RSRC2:TIDIG_COMP_CNT: 1
	.text
	.protected	_Z22differentiation_kernelPdPKddddS1_S1_S1_iiiidddddi ; -- Begin function _Z22differentiation_kernelPdPKddddS1_S1_S1_iiiidddddi
	.globl	_Z22differentiation_kernelPdPKddddS1_S1_S1_iiiidddddi
	.p2align	8
	.type	_Z22differentiation_kernelPdPKddddS1_S1_S1_iiiidddddi,@function
_Z22differentiation_kernelPdPKddddS1_S1_S1_iiiidddddi: ; @_Z22differentiation_kernelPdPKddddS1_S1_S1_iiiidddddi
; %bb.0:
	s_clause 0x1
	s_load_b32 s2, s[0:1], 0x8c
	s_load_b64 s[24:25], s[0:1], 0x40
	s_bfe_u32 s4, ttmp6, 0x4000c
	s_bfe_u32 s5, ttmp6, 0x40010
	s_add_co_i32 s4, s4, 1
	s_add_co_i32 s5, s5, 1
	s_and_b32 s3, ttmp6, 15
	s_bfe_u32 s6, ttmp6, 0x40004
	s_mul_i32 s4, ttmp9, s4
	s_mul_i32 s5, ttmp7, s5
	s_getreg_b32 s7, hwreg(HW_REG_IB_STS2, 6, 4)
	v_and_b32_e32 v1, 0x3ff, v0
	v_bfe_u32 v0, v0, 10, 10
	s_add_co_i32 s3, s3, s4
	s_add_co_i32 s6, s6, s5
	s_wait_kmcnt 0x0
	s_lshr_b32 s4, s2, 16
	s_and_b32 s2, s2, 0xffff
	s_cmp_eq_u32 s7, 0
	s_cselect_b32 s3, ttmp9, s3
	s_cselect_b32 s5, ttmp7, s6
	v_mad_u32 v22, s3, s2, v1
	v_mad_u32 v23, s5, s4, v0
	s_delay_alu instid0(VALU_DEP_2) | instskip(NEXT) | instid1(VALU_DEP_2)
	v_cmp_gt_i32_e32 vcc_lo, s25, v22
	v_cmp_gt_i32_e64 s2, s24, v23
	s_and_b32 s2, vcc_lo, s2
	s_delay_alu instid0(SALU_CYCLE_1)
	s_and_saveexec_b32 s3, s2
	s_cbranch_execz .LBB6_10
; %bb.1:
	s_clause 0x1
	s_load_b128 s[12:15], s[0:1], 0x30
	s_load_b32 s23, s[0:1], 0x4c
                                        ; implicit-def: $vgpr24
	s_wait_kmcnt 0x0
	global_load_b64 v[0:1], v22, s[12:13] scale_offset
	s_clause 0x1
	s_load_b256 s[4:11], s[0:1], 0x50
	s_load_b96 s[20:22], s[0:1], 0x70
	s_wait_kmcnt 0x0
	s_ashr_i32 s3, s22, 31
	s_mov_b32 s2, s22
	s_delay_alu instid0(SALU_CYCLE_1) | instskip(NEXT) | instid1(SALU_CYCLE_1)
	s_lshl_b64 s[2:3], s[2:3], 3
	s_add_nc_u64 s[2:3], s[14:15], s[2:3]
	s_load_b256 s[12:19], s[0:1], 0x10
	s_load_b64 s[26:27], s[2:3], 0x0
	s_wait_kmcnt 0x0
	v_add_f64_e64 v[14:15], s[16:17], -s[26:27]
	s_load_b64 s[2:3], s[0:1], 0x8
	s_wait_loadcnt 0x0
	v_fmac_f64_e64 v[0:1], s[10:11], 0.5
	s_delay_alu instid0(VALU_DEP_1) | instskip(SKIP_1) | instid1(VALU_DEP_1)
	v_add_f64_e64 v[0:1], v[0:1], -s[14:15]
	s_mov_b64 s[14:15], 0x3fedd9ad336a0500
	v_div_scale_f64 v[2:3], null, v[14:15], v[14:15], v[0:1]
	v_div_scale_f64 v[8:9], vcc_lo, v[0:1], v[14:15], v[0:1]
	s_delay_alu instid0(VALU_DEP_2) | instskip(SKIP_1) | instid1(TRANS32_DEP_1)
	v_rcp_f64_e32 v[4:5], v[2:3]
	v_nop
	v_fma_f64 v[6:7], -v[2:3], v[4:5], 1.0
	s_delay_alu instid0(VALU_DEP_1) | instskip(NEXT) | instid1(VALU_DEP_1)
	v_fmac_f64_e32 v[4:5], v[4:5], v[6:7]
	v_fma_f64 v[6:7], -v[2:3], v[4:5], 1.0
	s_delay_alu instid0(VALU_DEP_1) | instskip(NEXT) | instid1(VALU_DEP_1)
	v_fmac_f64_e32 v[4:5], v[4:5], v[6:7]
	v_mul_f64_e32 v[6:7], v[8:9], v[4:5]
	s_delay_alu instid0(VALU_DEP_1) | instskip(NEXT) | instid1(VALU_DEP_1)
	v_fma_f64 v[2:3], -v[2:3], v[6:7], v[8:9]
	v_div_fmas_f64 v[2:3], v[2:3], v[4:5], v[6:7]
	s_delay_alu instid0(VALU_DEP_1) | instskip(NEXT) | instid1(VALU_DEP_1)
	v_div_fixup_f64 v[8:9], v[2:3], v[14:15], v[0:1]
	v_and_b32_e32 v11, 0x7fffffff, v9
	s_delay_alu instid0(VALU_DEP_2) | instskip(NEXT) | instid1(VALU_DEP_1)
	v_mov_b32_e32 v10, v8
	v_div_scale_f64 v[0:1], null, v[10:11], v[10:11], 1.0
	v_div_scale_f64 v[6:7], vcc_lo, 1.0, v[10:11], 1.0
	s_delay_alu instid0(VALU_DEP_2) | instskip(SKIP_1) | instid1(TRANS32_DEP_1)
	v_rcp_f64_e32 v[2:3], v[0:1]
	v_nop
	v_fma_f64 v[4:5], -v[0:1], v[2:3], 1.0
	s_delay_alu instid0(VALU_DEP_1) | instskip(NEXT) | instid1(VALU_DEP_1)
	v_fmac_f64_e32 v[2:3], v[2:3], v[4:5]
	v_fma_f64 v[4:5], -v[0:1], v[2:3], 1.0
	s_delay_alu instid0(VALU_DEP_1) | instskip(NEXT) | instid1(VALU_DEP_1)
	v_fmac_f64_e32 v[2:3], v[2:3], v[4:5]
	v_mul_f64_e32 v[4:5], v[6:7], v[2:3]
	s_delay_alu instid0(VALU_DEP_1) | instskip(NEXT) | instid1(VALU_DEP_1)
	v_fma_f64 v[0:1], -v[0:1], v[4:5], v[6:7]
	v_div_fmas_f64 v[0:1], v[0:1], v[2:3], v[4:5]
	v_mad_u32 v2, v23, s23, v22
	v_cmp_gt_f64_e64 vcc_lo, |v[8:9]|, 1.0
	s_delay_alu instid0(VALU_DEP_2) | instskip(SKIP_1) | instid1(VALU_DEP_1)
	v_ashrrev_i32_e32 v3, 31, v2
	s_wait_kmcnt 0x0
	v_lshl_add_u64 v[18:19], v[2:3], 3, s[2:3]
	v_div_fixup_f64 v[12:13], v[0:1], |v[8:9]|, 1.0
	v_add_nc_u32_e32 v0, s23, v2
	s_delay_alu instid0(VALU_DEP_1) | instskip(NEXT) | instid1(VALU_DEP_1)
	v_ashrrev_i32_e32 v1, 31, v0
	v_lshl_add_u64 v[20:21], v[0:1], 3, s[2:3]
	global_load_b64 v[16:17], v23, s[18:19] scale_offset
	s_clause 0x1
	global_load_b128 v[0:3], v[18:19], off
	global_load_b128 v[4:7], v[20:21], off
	s_mov_b64 s[2:3], 0x3eeba404b5e68a13
	v_dual_cndmask_b32 v9, v11, v13 :: v_dual_cndmask_b32 v8, v8, v12
	s_delay_alu instid0(VALU_DEP_1) | instskip(NEXT) | instid1(VALU_DEP_1)
	v_mul_f64_e32 v[10:11], v[8:9], v[8:9]
	v_fmaak_f64 v[12:13], s[2:3], v[10:11], 0xbf23e260bd3237f4
	s_mov_b64 s[2:3], 0x3ffaf154eeb562d6
	s_delay_alu instid0(VALU_DEP_1) | instskip(NEXT) | instid1(VALU_DEP_1)
	v_fmaak_f64 v[12:13], v[10:11], v[12:13], 0x3f4b2bb069efb384
	v_fmaak_f64 v[12:13], v[10:11], v[12:13], 0xbf67952daf56de9b
	s_delay_alu instid0(VALU_DEP_1) | instskip(NEXT) | instid1(VALU_DEP_1)
	v_fmaak_f64 v[12:13], v[10:11], v[12:13], 0x3f7d6d43a595c56f
	v_fmaak_f64 v[12:13], v[10:11], v[12:13], 0xbf8c6ea4a57d9582
	;; [unrolled: 3-line block ×9, first 2 shown]
	s_delay_alu instid0(VALU_DEP_1) | instskip(NEXT) | instid1(VALU_DEP_1)
	v_mul_f64_e32 v[10:11], v[10:11], v[12:13]
                                        ; implicit-def: $vgpr12_vgpr13
	v_fmac_f64_e32 v[8:9], v[8:9], v[10:11]
	s_delay_alu instid0(VALU_DEP_1) | instskip(NEXT) | instid1(VALU_DEP_1)
	v_fma_f64 v[10:11], s[14:15], s[2:3], -v[8:9]
	v_dual_cndmask_b32 v9, v9, v11 :: v_dual_cndmask_b32 v8, v8, v10
                                        ; implicit-def: $vgpr10_vgpr11
	s_delay_alu instid0(VALU_DEP_1) | instskip(SKIP_2) | instid1(SALU_CYCLE_1)
	v_cmp_ngt_f64_e64 s2, 0x41d00000, |v[8:9]|
	s_wait_xcnt 0x0
	s_and_saveexec_b32 s3, s2
	s_xor_b32 s2, exec_lo, s3
	s_cbranch_execz .LBB6_3
; %bb.2:
	v_ldexp_f64 v[10:11], |v[8:9]|, 0xffffff80
	v_cmp_le_f64_e64 vcc_lo, 0x7b000000, |v[8:9]|
	v_trig_preop_f64 v[12:13], |v[8:9]|, 0
	v_and_b32_e32 v18, 0x7fffffff, v9
	v_trig_preop_f64 v[30:31], |v[8:9]|, 2
	s_mov_b64 s[14:15], 0x3ff921fb54442d18
	s_delay_alu instid0(VALU_DEP_2) | instskip(SKIP_2) | instid1(VALU_DEP_2)
	v_dual_mov_b32 v38, 0 :: v_dual_cndmask_b32 v11, v18, v11
	v_cndmask_b32_e32 v10, v8, v10, vcc_lo
	v_trig_preop_f64 v[18:19], |v[8:9]|, 1
	v_mul_f64_e32 v[20:21], v[12:13], v[10:11]
	v_mul_f64_e32 v[36:37], v[30:31], v[10:11]
	s_delay_alu instid0(VALU_DEP_3) | instskip(NEXT) | instid1(VALU_DEP_3)
	v_mul_f64_e32 v[24:25], v[18:19], v[10:11]
	v_fma_f64 v[12:13], v[12:13], v[10:11], -v[20:21]
	s_delay_alu instid0(VALU_DEP_2) | instskip(NEXT) | instid1(VALU_DEP_4)
	v_fma_f64 v[18:19], v[18:19], v[10:11], -v[24:25]
	v_fma_f64 v[10:11], v[30:31], v[10:11], -v[36:37]
	s_delay_alu instid0(VALU_DEP_3) | instskip(NEXT) | instid1(VALU_DEP_1)
	v_add_f64_e32 v[26:27], v[24:25], v[12:13]
	v_add_f64_e64 v[28:29], v[26:27], -v[24:25]
	v_add_f64_e32 v[34:35], v[20:21], v[26:27]
	s_delay_alu instid0(VALU_DEP_2) | instskip(SKIP_1) | instid1(VALU_DEP_3)
	v_add_f64_e64 v[32:33], v[26:27], -v[28:29]
	v_add_f64_e64 v[12:13], v[12:13], -v[28:29]
	v_ldexp_f64 v[28:29], v[34:35], -2
	s_delay_alu instid0(VALU_DEP_3) | instskip(SKIP_1) | instid1(VALU_DEP_3)
	v_add_f64_e64 v[24:25], v[24:25], -v[32:33]
	v_add_f64_e32 v[32:33], v[36:37], v[18:19]
	v_cmp_neq_f64_e64 vcc_lo, 0x7ff00000, |v[28:29]|
	s_delay_alu instid0(VALU_DEP_3) | instskip(SKIP_1) | instid1(VALU_DEP_1)
	v_add_f64_e32 v[12:13], v[12:13], v[24:25]
	v_fract_f64_e32 v[24:25], v[28:29]
	v_ldexp_f64 v[24:25], v[24:25], 2
	s_delay_alu instid0(VALU_DEP_1) | instskip(SKIP_1) | instid1(VALU_DEP_3)
	v_cndmask_b32_e32 v25, 0, v25, vcc_lo
	v_add_f64_e64 v[20:21], v[34:35], -v[20:21]
	v_cndmask_b32_e32 v24, 0, v24, vcc_lo
	s_delay_alu instid0(VALU_DEP_2) | instskip(SKIP_1) | instid1(VALU_DEP_1)
	v_add_f64_e64 v[20:21], v[26:27], -v[20:21]
	v_add_f64_e32 v[26:27], v[32:33], v[12:13]
	v_add_f64_e32 v[28:29], v[20:21], v[26:27]
	v_add_f64_e64 v[40:41], v[26:27], -v[32:33]
	s_delay_alu instid0(VALU_DEP_2) | instskip(NEXT) | instid1(VALU_DEP_2)
	v_add_f64_e32 v[34:35], v[28:29], v[24:25]
	v_add_f64_e64 v[46:47], v[26:27], -v[40:41]
	v_add_f64_e64 v[12:13], v[12:13], -v[40:41]
	;; [unrolled: 1-line block ×3, first 2 shown]
	s_delay_alu instid0(VALU_DEP_4) | instskip(SKIP_1) | instid1(VALU_DEP_3)
	v_cmp_gt_f64_e32 vcc_lo, 0, v[34:35]
	v_add_f64_e64 v[34:35], v[32:33], -v[36:37]
	v_add_f64_e64 v[20:21], v[26:27], -v[20:21]
	v_cndmask_b32_e64 v39, 0, 0x40100000, vcc_lo
	s_delay_alu instid0(VALU_DEP_3) | instskip(SKIP_2) | instid1(VALU_DEP_4)
	v_add_f64_e64 v[44:45], v[32:33], -v[34:35]
	v_add_f64_e64 v[18:19], v[18:19], -v[34:35]
	;; [unrolled: 1-line block ×3, first 2 shown]
	v_add_f64_e32 v[24:25], v[24:25], v[38:39]
	s_delay_alu instid0(VALU_DEP_4) | instskip(NEXT) | instid1(VALU_DEP_3)
	v_add_f64_e64 v[34:35], v[36:37], -v[44:45]
	v_add_f64_e32 v[12:13], v[12:13], v[32:33]
	s_delay_alu instid0(VALU_DEP_3) | instskip(NEXT) | instid1(VALU_DEP_3)
	v_add_f64_e32 v[42:43], v[28:29], v[24:25]
	v_add_f64_e32 v[18:19], v[18:19], v[34:35]
	s_delay_alu instid0(VALU_DEP_2) | instskip(NEXT) | instid1(VALU_DEP_2)
	v_cvt_i32_f64_e32 v39, v[42:43]
	v_add_f64_e32 v[12:13], v[18:19], v[12:13]
	s_delay_alu instid0(VALU_DEP_2) | instskip(NEXT) | instid1(VALU_DEP_2)
	v_cvt_f64_i32_e32 v[40:41], v39
	v_add_f64_e32 v[10:11], v[10:11], v[12:13]
	s_delay_alu instid0(VALU_DEP_2) | instskip(NEXT) | instid1(VALU_DEP_2)
	v_add_f64_e64 v[24:25], v[24:25], -v[40:41]
	v_add_f64_e32 v[10:11], v[20:21], v[10:11]
	s_delay_alu instid0(VALU_DEP_2) | instskip(NEXT) | instid1(VALU_DEP_1)
	v_add_f64_e32 v[18:19], v[28:29], v[24:25]
	v_add_f64_e64 v[12:13], v[18:19], -v[24:25]
	v_cmp_le_f64_e32 vcc_lo, 0.5, v[18:19]
	s_delay_alu instid0(VALU_DEP_2) | instskip(SKIP_2) | instid1(VALU_DEP_3)
	v_add_f64_e64 v[12:13], v[28:29], -v[12:13]
	v_add_co_ci_u32_e64 v24, null, 0, v39, vcc_lo
	v_cndmask_b32_e64 v39, 0, 0x3ff00000, vcc_lo
	v_add_f64_e32 v[10:11], v[10:11], v[12:13]
	s_delay_alu instid0(VALU_DEP_2) | instskip(NEXT) | instid1(VALU_DEP_1)
	v_add_f64_e64 v[12:13], v[18:19], -v[38:39]
	v_add_f64_e32 v[18:19], v[12:13], v[10:11]
	s_delay_alu instid0(VALU_DEP_1) | instskip(SKIP_1) | instid1(VALU_DEP_2)
	v_mul_f64_e32 v[20:21], 0x3ff921fb54442d18, v[18:19]
	v_add_f64_e64 v[12:13], v[18:19], -v[12:13]
	v_fma_f64 v[26:27], v[18:19], s[14:15], -v[20:21]
	s_delay_alu instid0(VALU_DEP_2) | instskip(NEXT) | instid1(VALU_DEP_2)
	v_add_f64_e64 v[10:11], v[10:11], -v[12:13]
	v_fmamk_f64 v[12:13], v[18:19], 0x3c91a62633145c07, v[26:27]
	s_delay_alu instid0(VALU_DEP_1) | instskip(NEXT) | instid1(VALU_DEP_1)
	v_fmac_f64_e32 v[12:13], 0x3ff921fb54442d18, v[10:11]
	v_add_f64_e32 v[10:11], v[20:21], v[12:13]
	s_delay_alu instid0(VALU_DEP_1) | instskip(NEXT) | instid1(VALU_DEP_1)
	v_add_f64_e64 v[18:19], v[10:11], -v[20:21]
	v_add_f64_e64 v[12:13], v[12:13], -v[18:19]
.LBB6_3:
	s_and_not1_saveexec_b32 s2, s2
	s_cbranch_execz .LBB6_5
; %bb.4:
	s_mov_b64 s[14:15], 0x3fe45f306dc9c883
	s_delay_alu instid0(SALU_CYCLE_1) | instskip(SKIP_1) | instid1(VALU_DEP_1)
	v_mul_f64_e64 v[10:11], |v[8:9]|, s[14:15]
	s_mov_b64 s[14:15], 0xbff921fb54442d18
	v_rndne_f64_e32 v[18:19], v[10:11]
	s_delay_alu instid0(VALU_DEP_1) | instskip(SKIP_1) | instid1(VALU_DEP_2)
	v_fma_f64 v[10:11], v[18:19], s[14:15], |v[8:9]|
	v_mul_f64_e32 v[12:13], 0xbc91a62633145c00, v[18:19]
	v_fmamk_f64 v[26:27], v[18:19], 0xbc91a62633145c00, v[10:11]
	s_delay_alu instid0(VALU_DEP_2) | instskip(NEXT) | instid1(VALU_DEP_1)
	v_add_f64_e32 v[20:21], v[10:11], v[12:13]
	v_add_f64_e64 v[24:25], v[10:11], -v[20:21]
	s_delay_alu instid0(VALU_DEP_3) | instskip(NEXT) | instid1(VALU_DEP_2)
	v_add_f64_e64 v[10:11], v[20:21], -v[26:27]
	v_add_f64_e32 v[20:21], v[24:25], v[12:13]
	v_fmamk_f64 v[12:13], v[18:19], 0x3c91a62633145c00, v[12:13]
	v_cvt_i32_f64_e32 v24, v[18:19]
	s_delay_alu instid0(VALU_DEP_3) | instskip(NEXT) | instid1(VALU_DEP_1)
	v_add_f64_e32 v[10:11], v[10:11], v[20:21]
	v_add_f64_e64 v[10:11], v[10:11], -v[12:13]
	s_delay_alu instid0(VALU_DEP_1) | instskip(NEXT) | instid1(VALU_DEP_1)
	v_fmamk_f64 v[12:13], v[18:19], 0xb97b839a252049c0, v[10:11]
	v_add_f64_e32 v[10:11], v[26:27], v[12:13]
	s_delay_alu instid0(VALU_DEP_1) | instskip(NEXT) | instid1(VALU_DEP_1)
	v_add_f64_e64 v[20:21], v[10:11], -v[26:27]
	v_add_f64_e64 v[12:13], v[12:13], -v[20:21]
.LBB6_5:
	s_or_b32 exec_lo, exec_lo, s2
	s_wait_loadcnt 0x2
	v_fmac_f64_e64 v[16:17], s[8:9], 0.5
	s_mov_b64 s[2:3], 0x3eeba404b5e68a13
                                        ; implicit-def: $vgpr25
	s_delay_alu instid0(VALU_DEP_1) | instskip(SKIP_1) | instid1(VALU_DEP_1)
	v_add_f64_e64 v[16:17], v[16:17], -s[12:13]
	s_mov_b64 s[12:13], 0x3fedd9ad336a0500
	v_div_scale_f64 v[18:19], null, v[14:15], v[14:15], v[16:17]
	v_div_scale_f64 v[28:29], vcc_lo, v[16:17], v[14:15], v[16:17]
	s_delay_alu instid0(VALU_DEP_2) | instskip(SKIP_1) | instid1(TRANS32_DEP_1)
	v_rcp_f64_e32 v[20:21], v[18:19]
	v_nop
	v_fma_f64 v[26:27], -v[18:19], v[20:21], 1.0
	s_delay_alu instid0(VALU_DEP_1) | instskip(NEXT) | instid1(VALU_DEP_1)
	v_fmac_f64_e32 v[20:21], v[20:21], v[26:27]
	v_fma_f64 v[26:27], -v[18:19], v[20:21], 1.0
	s_delay_alu instid0(VALU_DEP_1) | instskip(NEXT) | instid1(VALU_DEP_1)
	v_fmac_f64_e32 v[20:21], v[20:21], v[26:27]
	v_mul_f64_e32 v[26:27], v[28:29], v[20:21]
	s_delay_alu instid0(VALU_DEP_1) | instskip(NEXT) | instid1(VALU_DEP_1)
	v_fma_f64 v[18:19], -v[18:19], v[26:27], v[28:29]
	v_div_fmas_f64 v[18:19], v[18:19], v[20:21], v[26:27]
	s_delay_alu instid0(VALU_DEP_1) | instskip(NEXT) | instid1(VALU_DEP_1)
	v_div_fixup_f64 v[14:15], v[18:19], v[14:15], v[16:17]
	v_and_b32_e32 v17, 0x7fffffff, v15
	s_delay_alu instid0(VALU_DEP_2) | instskip(NEXT) | instid1(VALU_DEP_1)
	v_mov_b32_e32 v16, v14
	v_div_scale_f64 v[18:19], null, v[16:17], v[16:17], 1.0
	v_div_scale_f64 v[28:29], vcc_lo, 1.0, v[16:17], 1.0
	s_delay_alu instid0(VALU_DEP_2) | instskip(SKIP_1) | instid1(TRANS32_DEP_1)
	v_rcp_f64_e32 v[20:21], v[18:19]
	v_nop
	v_fma_f64 v[26:27], -v[18:19], v[20:21], 1.0
	s_delay_alu instid0(VALU_DEP_1) | instskip(NEXT) | instid1(VALU_DEP_1)
	v_fmac_f64_e32 v[20:21], v[20:21], v[26:27]
	v_fma_f64 v[26:27], -v[18:19], v[20:21], 1.0
	s_delay_alu instid0(VALU_DEP_1) | instskip(NEXT) | instid1(VALU_DEP_1)
	v_fmac_f64_e32 v[20:21], v[20:21], v[26:27]
	v_mul_f64_e32 v[26:27], v[28:29], v[20:21]
	s_delay_alu instid0(VALU_DEP_1) | instskip(NEXT) | instid1(VALU_DEP_1)
	v_fma_f64 v[18:19], -v[18:19], v[26:27], v[28:29]
	v_div_fmas_f64 v[18:19], v[18:19], v[20:21], v[26:27]
	v_cmp_gt_f64_e64 vcc_lo, |v[14:15]|, 1.0
	s_delay_alu instid0(VALU_DEP_2) | instskip(NEXT) | instid1(VALU_DEP_1)
	v_div_fixup_f64 v[18:19], v[18:19], |v[14:15]|, 1.0
	v_dual_cndmask_b32 v15, v17, v19 :: v_dual_cndmask_b32 v14, v14, v18
	s_delay_alu instid0(VALU_DEP_1) | instskip(NEXT) | instid1(VALU_DEP_1)
	v_mul_f64_e32 v[16:17], v[14:15], v[14:15]
	v_fmaak_f64 v[18:19], s[2:3], v[16:17], 0xbf23e260bd3237f4
	s_mov_b64 s[2:3], 0x3ffaf154eeb562d6
	s_delay_alu instid0(VALU_DEP_1) | instskip(NEXT) | instid1(VALU_DEP_1)
	v_fmaak_f64 v[18:19], v[16:17], v[18:19], 0x3f4b2bb069efb384
	v_fmaak_f64 v[18:19], v[16:17], v[18:19], 0xbf67952daf56de9b
	s_delay_alu instid0(VALU_DEP_1) | instskip(NEXT) | instid1(VALU_DEP_1)
	v_fmaak_f64 v[18:19], v[16:17], v[18:19], 0x3f7d6d43a595c56f
	v_fmaak_f64 v[18:19], v[16:17], v[18:19], 0xbf8c6ea4a57d9582
	;; [unrolled: 3-line block ×9, first 2 shown]
	s_delay_alu instid0(VALU_DEP_1) | instskip(NEXT) | instid1(VALU_DEP_1)
	v_mul_f64_e32 v[16:17], v[16:17], v[18:19]
                                        ; implicit-def: $vgpr18_vgpr19
	v_fmac_f64_e32 v[14:15], v[14:15], v[16:17]
	s_delay_alu instid0(VALU_DEP_1) | instskip(SKIP_3) | instid1(VALU_DEP_1)
	v_fma_f64 v[16:17], s[12:13], s[2:3], -v[14:15]
	s_load_b64 s[12:13], s[0:1], 0x0
	s_wait_xcnt 0x0
	s_mov_b32 s0, exec_lo
	v_dual_cndmask_b32 v15, v15, v17 :: v_dual_cndmask_b32 v14, v14, v16
                                        ; implicit-def: $vgpr16_vgpr17
	s_delay_alu instid0(VALU_DEP_1)
	v_cmpx_ngt_f64_e64 0x41d00000, |v[14:15]|
	s_xor_b32 s0, exec_lo, s0
	s_cbranch_execz .LBB6_7
; %bb.6:
	v_ldexp_f64 v[16:17], |v[14:15]|, 0xffffff80
	v_cmp_le_f64_e64 vcc_lo, 0x7b000000, |v[14:15]|
	v_trig_preop_f64 v[18:19], |v[14:15]|, 0
	v_and_b32_e32 v20, 0x7fffffff, v15
	v_trig_preop_f64 v[34:35], |v[14:15]|, 2
	s_mov_b64 s[2:3], 0x3ff921fb54442d18
	s_delay_alu instid0(VALU_DEP_2) | instskip(SKIP_2) | instid1(VALU_DEP_2)
	v_dual_mov_b32 v42, 0 :: v_dual_cndmask_b32 v17, v20, v17
	v_cndmask_b32_e32 v16, v14, v16, vcc_lo
	v_trig_preop_f64 v[20:21], |v[14:15]|, 1
	v_mul_f64_e32 v[26:27], v[18:19], v[16:17]
	v_mul_f64_e32 v[40:41], v[34:35], v[16:17]
	s_delay_alu instid0(VALU_DEP_3) | instskip(NEXT) | instid1(VALU_DEP_3)
	v_mul_f64_e32 v[28:29], v[20:21], v[16:17]
	v_fma_f64 v[18:19], v[18:19], v[16:17], -v[26:27]
	s_delay_alu instid0(VALU_DEP_2) | instskip(NEXT) | instid1(VALU_DEP_4)
	v_fma_f64 v[20:21], v[20:21], v[16:17], -v[28:29]
	v_fma_f64 v[16:17], v[34:35], v[16:17], -v[40:41]
	s_delay_alu instid0(VALU_DEP_3) | instskip(NEXT) | instid1(VALU_DEP_1)
	v_add_f64_e32 v[30:31], v[28:29], v[18:19]
	v_add_f64_e64 v[32:33], v[30:31], -v[28:29]
	v_add_f64_e32 v[38:39], v[26:27], v[30:31]
	s_delay_alu instid0(VALU_DEP_2) | instskip(SKIP_1) | instid1(VALU_DEP_3)
	v_add_f64_e64 v[36:37], v[30:31], -v[32:33]
	v_add_f64_e64 v[18:19], v[18:19], -v[32:33]
	v_ldexp_f64 v[32:33], v[38:39], -2
	s_delay_alu instid0(VALU_DEP_3) | instskip(SKIP_1) | instid1(VALU_DEP_3)
	v_add_f64_e64 v[28:29], v[28:29], -v[36:37]
	v_add_f64_e32 v[36:37], v[40:41], v[20:21]
	v_cmp_neq_f64_e64 vcc_lo, 0x7ff00000, |v[32:33]|
	s_delay_alu instid0(VALU_DEP_3) | instskip(SKIP_1) | instid1(VALU_DEP_1)
	v_add_f64_e32 v[18:19], v[18:19], v[28:29]
	v_fract_f64_e32 v[28:29], v[32:33]
	v_ldexp_f64 v[28:29], v[28:29], 2
	s_delay_alu instid0(VALU_DEP_1) | instskip(NEXT) | instid1(VALU_DEP_1)
	v_dual_add_f64 v[26:27], v[38:39], -v[26:27] :: v_dual_cndmask_b32 v28, 0, v28, vcc_lo
	v_dual_add_f64 v[26:27], v[30:31], -v[26:27] :: v_dual_cndmask_b32 v29, 0, v29, vcc_lo
	v_add_f64_e32 v[30:31], v[36:37], v[18:19]
	s_delay_alu instid0(VALU_DEP_1) | instskip(SKIP_1) | instid1(VALU_DEP_2)
	v_add_f64_e32 v[32:33], v[26:27], v[30:31]
	v_add_f64_e64 v[44:45], v[30:31], -v[36:37]
	v_add_f64_e32 v[38:39], v[32:33], v[28:29]
	s_delay_alu instid0(VALU_DEP_2) | instskip(SKIP_2) | instid1(VALU_DEP_4)
	v_add_f64_e64 v[50:51], v[30:31], -v[44:45]
	v_add_f64_e64 v[18:19], v[18:19], -v[44:45]
	;; [unrolled: 1-line block ×3, first 2 shown]
	v_cmp_gt_f64_e32 vcc_lo, 0, v[38:39]
	v_add_f64_e64 v[38:39], v[36:37], -v[40:41]
	s_delay_alu instid0(VALU_DEP_3) | instskip(SKIP_1) | instid1(VALU_DEP_3)
	v_add_f64_e64 v[26:27], v[30:31], -v[26:27]
	v_cndmask_b32_e64 v43, 0, 0x40100000, vcc_lo
	v_add_f64_e64 v[48:49], v[36:37], -v[38:39]
	v_add_f64_e64 v[20:21], v[20:21], -v[38:39]
	v_add_f64_e64 v[36:37], v[36:37], -v[50:51]
	s_delay_alu instid0(VALU_DEP_4) | instskip(NEXT) | instid1(VALU_DEP_4)
	v_add_f64_e32 v[28:29], v[28:29], v[42:43]
	v_add_f64_e64 v[38:39], v[40:41], -v[48:49]
	s_delay_alu instid0(VALU_DEP_3) | instskip(NEXT) | instid1(VALU_DEP_3)
	v_add_f64_e32 v[18:19], v[18:19], v[36:37]
	v_add_f64_e32 v[46:47], v[32:33], v[28:29]
	s_delay_alu instid0(VALU_DEP_3) | instskip(NEXT) | instid1(VALU_DEP_2)
	v_add_f64_e32 v[20:21], v[20:21], v[38:39]
	v_cvt_i32_f64_e32 v25, v[46:47]
	s_delay_alu instid0(VALU_DEP_2) | instskip(NEXT) | instid1(VALU_DEP_2)
	v_add_f64_e32 v[18:19], v[20:21], v[18:19]
	v_cvt_f64_i32_e32 v[44:45], v25
	s_delay_alu instid0(VALU_DEP_2) | instskip(NEXT) | instid1(VALU_DEP_2)
	v_add_f64_e32 v[16:17], v[16:17], v[18:19]
	v_add_f64_e64 v[28:29], v[28:29], -v[44:45]
	s_delay_alu instid0(VALU_DEP_2) | instskip(NEXT) | instid1(VALU_DEP_2)
	v_add_f64_e32 v[16:17], v[26:27], v[16:17]
	v_add_f64_e32 v[20:21], v[32:33], v[28:29]
	s_delay_alu instid0(VALU_DEP_1) | instskip(SKIP_1) | instid1(VALU_DEP_2)
	v_add_f64_e64 v[18:19], v[20:21], -v[28:29]
	v_cmp_le_f64_e32 vcc_lo, 0.5, v[20:21]
	v_add_f64_e64 v[18:19], v[32:33], -v[18:19]
	v_cndmask_b32_e64 v43, 0, 0x3ff00000, vcc_lo
	v_add_co_ci_u32_e64 v25, null, 0, v25, vcc_lo
	s_delay_alu instid0(VALU_DEP_3) | instskip(NEXT) | instid1(VALU_DEP_3)
	v_add_f64_e32 v[16:17], v[16:17], v[18:19]
	v_add_f64_e64 v[18:19], v[20:21], -v[42:43]
	s_delay_alu instid0(VALU_DEP_1) | instskip(NEXT) | instid1(VALU_DEP_1)
	v_add_f64_e32 v[20:21], v[18:19], v[16:17]
	v_mul_f64_e32 v[26:27], 0x3ff921fb54442d18, v[20:21]
	v_add_f64_e64 v[18:19], v[20:21], -v[18:19]
	s_delay_alu instid0(VALU_DEP_2) | instskip(NEXT) | instid1(VALU_DEP_2)
	v_fma_f64 v[28:29], v[20:21], s[2:3], -v[26:27]
	v_add_f64_e64 v[16:17], v[16:17], -v[18:19]
	s_delay_alu instid0(VALU_DEP_2) | instskip(NEXT) | instid1(VALU_DEP_1)
	v_fmamk_f64 v[18:19], v[20:21], 0x3c91a62633145c07, v[28:29]
	v_fmac_f64_e32 v[18:19], 0x3ff921fb54442d18, v[16:17]
	s_delay_alu instid0(VALU_DEP_1) | instskip(NEXT) | instid1(VALU_DEP_1)
	v_add_f64_e32 v[16:17], v[26:27], v[18:19]
	v_add_f64_e64 v[20:21], v[16:17], -v[26:27]
	s_delay_alu instid0(VALU_DEP_1)
	v_add_f64_e64 v[18:19], v[18:19], -v[20:21]
.LBB6_7:
	s_and_not1_saveexec_b32 s0, s0
	s_cbranch_execz .LBB6_9
; %bb.8:
	s_mov_b64 s[2:3], 0x3fe45f306dc9c883
	s_delay_alu instid0(SALU_CYCLE_1) | instskip(SKIP_1) | instid1(VALU_DEP_1)
	v_mul_f64_e64 v[16:17], |v[14:15]|, s[2:3]
	s_mov_b64 s[2:3], 0xbff921fb54442d18
	v_rndne_f64_e32 v[20:21], v[16:17]
	s_delay_alu instid0(VALU_DEP_1) | instskip(SKIP_2) | instid1(VALU_DEP_3)
	v_fma_f64 v[16:17], v[20:21], s[2:3], |v[14:15]|
	v_mul_f64_e32 v[18:19], 0xbc91a62633145c00, v[20:21]
	v_cvt_i32_f64_e32 v25, v[20:21]
	v_fmamk_f64 v[30:31], v[20:21], 0xbc91a62633145c00, v[16:17]
	s_delay_alu instid0(VALU_DEP_3) | instskip(NEXT) | instid1(VALU_DEP_1)
	v_add_f64_e32 v[26:27], v[16:17], v[18:19]
	v_add_f64_e64 v[28:29], v[16:17], -v[26:27]
	s_delay_alu instid0(VALU_DEP_3) | instskip(NEXT) | instid1(VALU_DEP_2)
	v_add_f64_e64 v[16:17], v[26:27], -v[30:31]
	v_add_f64_e32 v[26:27], v[28:29], v[18:19]
	v_fmamk_f64 v[18:19], v[20:21], 0x3c91a62633145c00, v[18:19]
	s_delay_alu instid0(VALU_DEP_2) | instskip(NEXT) | instid1(VALU_DEP_1)
	v_add_f64_e32 v[16:17], v[16:17], v[26:27]
	v_add_f64_e64 v[16:17], v[16:17], -v[18:19]
	s_delay_alu instid0(VALU_DEP_1) | instskip(NEXT) | instid1(VALU_DEP_1)
	v_fmamk_f64 v[18:19], v[20:21], 0xb97b839a252049c0, v[16:17]
	v_add_f64_e32 v[16:17], v[30:31], v[18:19]
	s_delay_alu instid0(VALU_DEP_1) | instskip(NEXT) | instid1(VALU_DEP_1)
	v_add_f64_e64 v[26:27], v[16:17], -v[30:31]
	v_add_f64_e64 v[18:19], v[18:19], -v[26:27]
.LBB6_9:
	s_or_b32 exec_lo, exec_lo, s0
	v_mul_f64_e32 v[20:21], v[10:11], v[10:11]
	v_cmp_class_f64_e64 s0, v[8:9], 0x1f8
	v_mul_f64_e32 v[26:27], v[16:17], v[16:17]
	v_mov_b64_e32 v[28:29], 0xbe5ae600b42fdfa7
	v_mov_b64_e32 v[32:33], 0x3e21eeb69037ab78
	;; [unrolled: 1-line block ×5, first 2 shown]
	v_mul_f64_e32 v[50:51], 0.5, v[18:19]
	v_cmp_class_f64_e64 s2, v[14:15], 0x1f8
	v_mul_f64_e32 v[48:49], 0.5, v[12:13]
	v_fmamk_f64 v[30:31], v[20:21], 0x3de5e0b2f9a43bb8, v[28:29]
	v_fmamk_f64 v[38:39], v[20:21], 0xbda907db46cc5e42, v[32:33]
	v_fmac_f64_e32 v[28:29], 0x3de5e0b2f9a43bb8, v[26:27]
	v_fmac_f64_e32 v[32:33], 0xbda907db46cc5e42, v[26:27]
	v_mul_f64_e32 v[40:41], 0.5, v[26:27]
	v_mul_f64_e64 v[54:55], v[16:17], -v[26:27]
	s_delay_alu instid0(VALU_DEP_4) | instskip(SKIP_1) | instid1(VALU_DEP_1)
	v_fmac_f64_e32 v[34:35], v[26:27], v[28:29]
	v_mov_b64_e32 v[28:29], 0xbe927e4fa17f65f6
	v_fmac_f64_e32 v[28:29], v[26:27], v[32:33]
	v_add_f64_e64 v[32:33], -v[40:41], 1.0
	s_delay_alu instid0(VALU_DEP_4) | instskip(SKIP_1) | instid1(VALU_DEP_1)
	v_fmac_f64_e32 v[42:43], v[26:27], v[34:35]
	v_mov_b64_e32 v[34:35], 0x3efa01a019f4ec90
	v_fmac_f64_e32 v[34:35], v[26:27], v[28:29]
	s_delay_alu instid0(VALU_DEP_4) | instskip(NEXT) | instid1(VALU_DEP_4)
	v_add_f64_e64 v[28:29], -v[32:33], 1.0
	v_fmac_f64_e32 v[46:47], v[26:27], v[42:43]
	v_mov_b64_e32 v[42:43], 0xbf56c16c16c16967
	s_delay_alu instid0(VALU_DEP_1) | instskip(NEXT) | instid1(VALU_DEP_4)
	v_fmac_f64_e32 v[42:43], v[26:27], v[34:35]
	v_add_f64_e64 v[28:29], v[28:29], -v[40:41]
	v_mov_b64_e32 v[34:35], 0x3fa5555555555555
	v_fmac_f64_e32 v[50:51], v[54:55], v[46:47]
	s_delay_alu instid0(VALU_DEP_2) | instskip(NEXT) | instid1(VALU_DEP_4)
	v_fmac_f64_e32 v[34:35], v[26:27], v[42:43]
	v_fma_f64 v[28:29], v[16:17], -v[18:19], v[28:29]
	s_delay_alu instid0(VALU_DEP_3) | instskip(NEXT) | instid1(VALU_DEP_1)
	v_fma_f64 v[18:19], v[26:27], v[50:51], -v[18:19]
	v_fmac_f64_e32 v[18:19], 0xbfc5555555555555, v[54:55]
	s_delay_alu instid0(VALU_DEP_1)
	v_dual_add_f64 v[16:17], v[16:17], -v[18:19] :: v_dual_bitop2_b32 v18, 1, v24 bitop3:0x40
	v_mul_f64_e32 v[36:37], 0.5, v[20:21]
	v_mul_f64_e64 v[52:53], v[10:11], -v[20:21]
	v_fmaak_f64 v[30:31], v[20:21], v[30:31], 0x3ec71de3796cde01
	v_and_b32_e32 v19, 1, v25
	v_cmp_eq_u32_e32 vcc_lo, 0, v18
	s_delay_alu instid0(VALU_DEP_2) | instskip(NEXT) | instid1(VALU_DEP_4)
	v_cmp_eq_u32_e64 s1, 0, v19
	v_fmaak_f64 v[30:31], v[20:21], v[30:31], 0xbf2a01a019e83e5c
	v_mul_f64_e32 v[40:41], v[26:27], v[26:27]
	v_fmaak_f64 v[26:27], v[20:21], v[38:39], 0xbe927e4fa17f65f6
	s_delay_alu instid0(VALU_DEP_3) | instskip(NEXT) | instid1(VALU_DEP_2)
	v_fmaak_f64 v[30:31], v[20:21], v[30:31], 0x3f81111111110bb3
	v_fmaak_f64 v[26:27], v[20:21], v[26:27], 0x3efa01a019f4ec90
	s_delay_alu instid0(VALU_DEP_1) | instskip(SKIP_3) | instid1(VALU_DEP_2)
	v_fmaak_f64 v[26:27], v[20:21], v[26:27], 0xbf56c16c16c16967
	v_xor_b32_e32 v9, 0x80000000, v17
	v_add_f64_e64 v[44:45], -v[36:37], 1.0
	v_fmac_f64_e32 v[48:49], v[52:53], v[30:31]
	v_add_f64_e64 v[56:57], -v[44:45], 1.0
	s_delay_alu instid0(VALU_DEP_2) | instskip(NEXT) | instid1(VALU_DEP_2)
	v_fma_f64 v[46:47], v[20:21], v[48:49], -v[12:13]
	v_add_f64_e64 v[30:31], v[56:57], -v[36:37]
	v_mul_f64_e32 v[36:37], v[20:21], v[20:21]
	v_fmaak_f64 v[20:21], v[20:21], v[26:27], 0x3fa5555555555555
	s_delay_alu instid0(VALU_DEP_4) | instskip(NEXT) | instid1(VALU_DEP_4)
	v_fmac_f64_e32 v[46:47], 0xbfc5555555555555, v[52:53]
	v_fma_f64 v[12:13], v[10:11], -v[12:13], v[30:31]
	s_delay_alu instid0(VALU_DEP_2) | instskip(NEXT) | instid1(VALU_DEP_2)
	v_add_f64_e64 v[10:11], v[10:11], -v[46:47]
	v_fmac_f64_e32 v[12:13], v[36:37], v[20:21]
	s_delay_alu instid0(VALU_DEP_2) | instskip(SKIP_1) | instid1(VALU_DEP_3)
	v_xor_b32_e32 v8, 0x80000000, v11
	v_lshlrev_b32_e32 v11, 30, v24
	v_add_f64_e32 v[12:13], v[44:45], v[12:13]
	s_delay_alu instid0(VALU_DEP_1) | instskip(SKIP_2) | instid1(VALU_DEP_3)
	v_cndmask_b32_e32 v8, v8, v13, vcc_lo
	v_lshlrev_b32_e32 v13, 30, v25
	v_fmac_f64_e32 v[28:29], v[40:41], v[34:35]
	v_bitop3_b32 v11, v8, v11, 0x80000000 bitop3:0x78
	s_delay_alu instid0(VALU_DEP_2) | instskip(NEXT) | instid1(VALU_DEP_1)
	v_add_f64_e32 v[20:21], v[32:33], v[28:29]
	v_dual_cndmask_b32 v9, v9, v21, s1 :: v_dual_cndmask_b32 v10, v10, v12, vcc_lo
	s_delay_alu instid0(VALU_DEP_2) | instskip(SKIP_2) | instid1(VALU_DEP_3)
	v_cndmask_b32_e64 v12, v16, v20, s1
	s_wait_loadcnt 0x0
	v_cmp_eq_f64_e64 s1, 0, v[6:7]
	v_bitop3_b32 v13, v9, v13, 0x80000000 bitop3:0x78
	v_cndmask_b32_e64 v8, 0, v10, s0
	v_cndmask_b32_e64 v9, 0x7ff80000, v11, s0
	v_cmp_eq_f64_e64 s0, 0, v[2:3]
	v_cndmask_b32_e64 v10, 0, v12, s2
	v_cndmask_b32_e64 v11, 0x7ff80000, v13, s2
	v_mad_u32 v12, s22, s24, v23
	s_delay_alu instid0(VALU_DEP_1) | instskip(SKIP_3) | instid1(SALU_CYCLE_1)
	v_mad_u32 v22, v12, s25, v22
	s_wait_kmcnt 0x0
	global_load_b64 v[14:15], v22, s[12:13] scale_offset
	s_and_b32 s0, s0, s1
	v_dual_mul_f64 v[8:9], v[8:9], v[10:11] :: v_dual_cndmask_b32 v3, v3, v1, s0
	v_mul_f64_e64 v[10:11], s[4:5], s[6:7]
	v_dual_cndmask_b32 v7, v7, v5, s0 :: v_dual_cndmask_b32 v6, v6, v4, s0
	v_cndmask_b32_e64 v2, v2, v0, s0
	s_delay_alu instid0(VALU_DEP_1) | instskip(SKIP_2) | instid1(VALU_DEP_3)
	v_add_f64_e64 v[2:3], v[6:7], -v[2:3]
	v_mul_f64_e32 v[8:9], s[8:9], v[8:9]
	v_mul_f64_e32 v[10:11], s[20:21], v[10:11]
	v_add_f64_e64 v[2:3], v[2:3], -v[4:5]
	s_delay_alu instid0(VALU_DEP_3) | instskip(NEXT) | instid1(VALU_DEP_2)
	v_mul_f64_e32 v[8:9], s[10:11], v[8:9]
	v_add_f64_e32 v[0:1], v[0:1], v[2:3]
	s_delay_alu instid0(VALU_DEP_2) | instskip(NEXT) | instid1(VALU_DEP_1)
	v_div_scale_f64 v[12:13], null, v[8:9], v[8:9], v[10:11]
	v_rcp_f64_e32 v[16:17], v[12:13]
	v_nop
	s_delay_alu instid0(TRANS32_DEP_1) | instskip(NEXT) | instid1(VALU_DEP_1)
	v_fma_f64 v[18:19], -v[12:13], v[16:17], 1.0
	v_fmac_f64_e32 v[16:17], v[16:17], v[18:19]
	s_delay_alu instid0(VALU_DEP_1) | instskip(NEXT) | instid1(VALU_DEP_1)
	v_fma_f64 v[18:19], -v[12:13], v[16:17], 1.0
	v_fmac_f64_e32 v[16:17], v[16:17], v[18:19]
	v_div_scale_f64 v[18:19], vcc_lo, v[10:11], v[8:9], v[10:11]
	s_delay_alu instid0(VALU_DEP_1) | instskip(NEXT) | instid1(VALU_DEP_1)
	v_mul_f64_e32 v[20:21], v[18:19], v[16:17]
	v_fma_f64 v[6:7], -v[12:13], v[20:21], v[18:19]
	s_delay_alu instid0(VALU_DEP_1) | instskip(NEXT) | instid1(VALU_DEP_1)
	v_div_fmas_f64 v[4:5], v[6:7], v[16:17], v[20:21]
	v_div_fixup_f64 v[2:3], v[4:5], v[8:9], v[10:11]
	s_wait_loadcnt 0x0
	s_delay_alu instid0(VALU_DEP_1)
	v_fmac_f64_e32 v[14:15], v[0:1], v[2:3]
	global_store_b64 v22, v[14:15], s[12:13] scale_offset
.LBB6_10:
	s_endpgm
	.section	.rodata,"a",@progbits
	.p2align	6, 0x0
	.amdhsa_kernel _Z22differentiation_kernelPdPKddddS1_S1_S1_iiiidddddi
		.amdhsa_group_segment_fixed_size 0
		.amdhsa_private_segment_fixed_size 0
		.amdhsa_kernarg_size 384
		.amdhsa_user_sgpr_count 2
		.amdhsa_user_sgpr_dispatch_ptr 0
		.amdhsa_user_sgpr_queue_ptr 0
		.amdhsa_user_sgpr_kernarg_segment_ptr 1
		.amdhsa_user_sgpr_dispatch_id 0
		.amdhsa_user_sgpr_kernarg_preload_length 0
		.amdhsa_user_sgpr_kernarg_preload_offset 0
		.amdhsa_user_sgpr_private_segment_size 0
		.amdhsa_wavefront_size32 1
		.amdhsa_uses_dynamic_stack 0
		.amdhsa_enable_private_segment 0
		.amdhsa_system_sgpr_workgroup_id_x 1
		.amdhsa_system_sgpr_workgroup_id_y 1
		.amdhsa_system_sgpr_workgroup_id_z 0
		.amdhsa_system_sgpr_workgroup_info 0
		.amdhsa_system_vgpr_workitem_id 1
		.amdhsa_next_free_vgpr 58
		.amdhsa_next_free_sgpr 28
		.amdhsa_named_barrier_count 0
		.amdhsa_reserve_vcc 1
		.amdhsa_float_round_mode_32 0
		.amdhsa_float_round_mode_16_64 0
		.amdhsa_float_denorm_mode_32 3
		.amdhsa_float_denorm_mode_16_64 3
		.amdhsa_fp16_overflow 0
		.amdhsa_memory_ordered 1
		.amdhsa_forward_progress 1
		.amdhsa_inst_pref_size 33
		.amdhsa_round_robin_scheduling 0
		.amdhsa_exception_fp_ieee_invalid_op 0
		.amdhsa_exception_fp_denorm_src 0
		.amdhsa_exception_fp_ieee_div_zero 0
		.amdhsa_exception_fp_ieee_overflow 0
		.amdhsa_exception_fp_ieee_underflow 0
		.amdhsa_exception_fp_ieee_inexact 0
		.amdhsa_exception_int_div_zero 0
	.end_amdhsa_kernel
	.text
.Lfunc_end6:
	.size	_Z22differentiation_kernelPdPKddddS1_S1_S1_iiiidddddi, .Lfunc_end6-_Z22differentiation_kernelPdPKddddS1_S1_S1_iiiidddddi
                                        ; -- End function
	.set _Z22differentiation_kernelPdPKddddS1_S1_S1_iiiidddddi.num_vgpr, 58
	.set _Z22differentiation_kernelPdPKddddS1_S1_S1_iiiidddddi.num_agpr, 0
	.set _Z22differentiation_kernelPdPKddddS1_S1_S1_iiiidddddi.numbered_sgpr, 28
	.set _Z22differentiation_kernelPdPKddddS1_S1_S1_iiiidddddi.num_named_barrier, 0
	.set _Z22differentiation_kernelPdPKddddS1_S1_S1_iiiidddddi.private_seg_size, 0
	.set _Z22differentiation_kernelPdPKddddS1_S1_S1_iiiidddddi.uses_vcc, 1
	.set _Z22differentiation_kernelPdPKddddS1_S1_S1_iiiidddddi.uses_flat_scratch, 0
	.set _Z22differentiation_kernelPdPKddddS1_S1_S1_iiiidddddi.has_dyn_sized_stack, 0
	.set _Z22differentiation_kernelPdPKddddS1_S1_S1_iiiidddddi.has_recursion, 0
	.set _Z22differentiation_kernelPdPKddddS1_S1_S1_iiiidddddi.has_indirect_call, 0
	.section	.AMDGPU.csdata,"",@progbits
; Kernel info:
; codeLenInByte = 4164
; TotalNumSgprs: 30
; NumVgprs: 58
; ScratchSize: 0
; MemoryBound: 0
; FloatMode: 240
; IeeeMode: 1
; LDSByteSize: 0 bytes/workgroup (compile time only)
; SGPRBlocks: 0
; VGPRBlocks: 3
; NumSGPRsForWavesPerEU: 30
; NumVGPRsForWavesPerEU: 58
; NamedBarCnt: 0
; Occupancy: 16
; WaveLimiterHint : 0
; COMPUTE_PGM_RSRC2:SCRATCH_EN: 0
; COMPUTE_PGM_RSRC2:USER_SGPR: 2
; COMPUTE_PGM_RSRC2:TRAP_HANDLER: 0
; COMPUTE_PGM_RSRC2:TGID_X_EN: 1
; COMPUTE_PGM_RSRC2:TGID_Y_EN: 1
; COMPUTE_PGM_RSRC2:TGID_Z_EN: 0
; COMPUTE_PGM_RSRC2:TIDIG_COMP_CNT: 1
	.text
	.protected	_Z15division_kernelPdiiii ; -- Begin function _Z15division_kernelPdiiii
	.globl	_Z15division_kernelPdiiii
	.p2align	8
	.type	_Z15division_kernelPdiiii,@function
_Z15division_kernelPdiiii:              ; @_Z15division_kernelPdiiii
; %bb.0:
	s_clause 0x1
	s_load_b64 s[2:3], s[0:1], 0x24
	s_load_b128 s[4:7], s[0:1], 0x8
	s_bfe_u32 s12, ttmp6, 0x40010
	s_bfe_u32 s9, ttmp6, 0x40014
	s_bfe_u32 s15, ttmp6, 0x4000c
	s_and_b32 s11, ttmp7, 0xffff
	s_add_co_i32 s12, s12, 1
	s_lshr_b32 s8, ttmp7, 16
	s_add_co_i32 s9, s9, 1
	s_add_co_i32 s15, s15, 1
	s_bfe_u32 s13, ttmp6, 0x40004
	s_mul_i32 s12, s11, s12
	s_bfe_u32 s10, ttmp6, 0x40008
	s_and_b32 s14, ttmp6, 15
	s_mul_i32 s9, s8, s9
	s_mul_i32 s15, ttmp9, s15
	s_add_co_i32 s13, s13, s12
	s_getreg_b32 s12, hwreg(HW_REG_IB_STS2, 6, 4)
	s_add_co_i32 s10, s10, s9
	s_add_co_i32 s14, s14, s15
	s_wait_kmcnt 0x0
	s_and_b32 s3, s3, 0xffff
	s_lshr_b32 s9, s2, 16
	s_and_b32 s2, s2, 0xffff
	v_and_b32_e32 v1, 0x3ff, v0
	v_bfe_u32 v2, v0, 10, 10
	s_cmp_eq_u32 s12, 0
	v_bfe_u32 v3, v0, 20, 10
	s_cselect_b32 s12, ttmp9, s14
	s_cselect_b32 s11, s11, s13
	v_mad_u32 v0, s12, s2, v1
	v_mad_u32 v1, s11, s9, v2
	s_cselect_b32 s2, s8, s10
	s_delay_alu instid0(SALU_CYCLE_1) | instskip(NEXT) | instid1(VALU_DEP_3)
	v_mad_u32 v2, s2, s3, v3
	v_cmp_gt_i32_e32 vcc_lo, s5, v0
	s_delay_alu instid0(VALU_DEP_3) | instskip(NEXT) | instid1(VALU_DEP_3)
	v_cmp_gt_i32_e64 s2, s4, v1
	v_cmp_gt_i32_e64 s3, s6, v2
	s_and_b32 s2, vcc_lo, s2
	s_delay_alu instid0(SALU_CYCLE_1) | instskip(NEXT) | instid1(SALU_CYCLE_1)
	s_and_b32 s2, s2, s3
	s_and_saveexec_b32 s3, s2
	s_cbranch_execz .LBB7_2
; %bb.1:
	v_mad_u32 v1, v2, s4, v1
	s_load_b64 s[0:1], s[0:1], 0x0
	v_cvt_f64_i32_e32 v[2:3], s7
	s_delay_alu instid0(VALU_DEP_2) | instskip(SKIP_4) | instid1(VALU_DEP_1)
	v_mad_u32 v12, v1, s5, v0
	s_wait_kmcnt 0x0
	global_load_b64 v[0:1], v12, s[0:1] scale_offset
	s_wait_loadcnt 0x0
	v_div_scale_f64 v[4:5], null, v[2:3], v[2:3], v[0:1]
	v_rcp_f64_e32 v[6:7], v[4:5]
	v_nop
	s_delay_alu instid0(TRANS32_DEP_1) | instskip(NEXT) | instid1(VALU_DEP_1)
	v_fma_f64 v[8:9], -v[4:5], v[6:7], 1.0
	v_fmac_f64_e32 v[6:7], v[6:7], v[8:9]
	s_delay_alu instid0(VALU_DEP_1) | instskip(NEXT) | instid1(VALU_DEP_1)
	v_fma_f64 v[8:9], -v[4:5], v[6:7], 1.0
	v_fmac_f64_e32 v[6:7], v[6:7], v[8:9]
	v_div_scale_f64 v[8:9], vcc_lo, v[0:1], v[2:3], v[0:1]
	s_delay_alu instid0(VALU_DEP_1) | instskip(NEXT) | instid1(VALU_DEP_1)
	v_mul_f64_e32 v[10:11], v[8:9], v[6:7]
	v_fma_f64 v[4:5], -v[4:5], v[10:11], v[8:9]
	s_delay_alu instid0(VALU_DEP_1) | instskip(NEXT) | instid1(VALU_DEP_1)
	v_div_fmas_f64 v[4:5], v[4:5], v[6:7], v[10:11]
	v_div_fixup_f64 v[0:1], v[4:5], v[2:3], v[0:1]
	global_store_b64 v12, v[0:1], s[0:1] scale_offset
.LBB7_2:
	s_endpgm
	.section	.rodata,"a",@progbits
	.p2align	6, 0x0
	.amdhsa_kernel _Z15division_kernelPdiiii
		.amdhsa_group_segment_fixed_size 0
		.amdhsa_private_segment_fixed_size 0
		.amdhsa_kernarg_size 280
		.amdhsa_user_sgpr_count 2
		.amdhsa_user_sgpr_dispatch_ptr 0
		.amdhsa_user_sgpr_queue_ptr 0
		.amdhsa_user_sgpr_kernarg_segment_ptr 1
		.amdhsa_user_sgpr_dispatch_id 0
		.amdhsa_user_sgpr_kernarg_preload_length 0
		.amdhsa_user_sgpr_kernarg_preload_offset 0
		.amdhsa_user_sgpr_private_segment_size 0
		.amdhsa_wavefront_size32 1
		.amdhsa_uses_dynamic_stack 0
		.amdhsa_enable_private_segment 0
		.amdhsa_system_sgpr_workgroup_id_x 1
		.amdhsa_system_sgpr_workgroup_id_y 1
		.amdhsa_system_sgpr_workgroup_id_z 1
		.amdhsa_system_sgpr_workgroup_info 0
		.amdhsa_system_vgpr_workitem_id 2
		.amdhsa_next_free_vgpr 13
		.amdhsa_next_free_sgpr 16
		.amdhsa_named_barrier_count 0
		.amdhsa_reserve_vcc 1
		.amdhsa_float_round_mode_32 0
		.amdhsa_float_round_mode_16_64 0
		.amdhsa_float_denorm_mode_32 3
		.amdhsa_float_denorm_mode_16_64 3
		.amdhsa_fp16_overflow 0
		.amdhsa_memory_ordered 1
		.amdhsa_forward_progress 1
		.amdhsa_inst_pref_size 4
		.amdhsa_round_robin_scheduling 0
		.amdhsa_exception_fp_ieee_invalid_op 0
		.amdhsa_exception_fp_denorm_src 0
		.amdhsa_exception_fp_ieee_div_zero 0
		.amdhsa_exception_fp_ieee_overflow 0
		.amdhsa_exception_fp_ieee_underflow 0
		.amdhsa_exception_fp_ieee_inexact 0
		.amdhsa_exception_int_div_zero 0
	.end_amdhsa_kernel
	.text
.Lfunc_end7:
	.size	_Z15division_kernelPdiiii, .Lfunc_end7-_Z15division_kernelPdiiii
                                        ; -- End function
	.set _Z15division_kernelPdiiii.num_vgpr, 13
	.set _Z15division_kernelPdiiii.num_agpr, 0
	.set _Z15division_kernelPdiiii.numbered_sgpr, 16
	.set _Z15division_kernelPdiiii.num_named_barrier, 0
	.set _Z15division_kernelPdiiii.private_seg_size, 0
	.set _Z15division_kernelPdiiii.uses_vcc, 1
	.set _Z15division_kernelPdiiii.uses_flat_scratch, 0
	.set _Z15division_kernelPdiiii.has_dyn_sized_stack, 0
	.set _Z15division_kernelPdiiii.has_recursion, 0
	.set _Z15division_kernelPdiiii.has_indirect_call, 0
	.section	.AMDGPU.csdata,"",@progbits
; Kernel info:
; codeLenInByte = 412
; TotalNumSgprs: 18
; NumVgprs: 13
; ScratchSize: 0
; MemoryBound: 0
; FloatMode: 240
; IeeeMode: 1
; LDSByteSize: 0 bytes/workgroup (compile time only)
; SGPRBlocks: 0
; VGPRBlocks: 0
; NumSGPRsForWavesPerEU: 18
; NumVGPRsForWavesPerEU: 13
; NamedBarCnt: 0
; Occupancy: 16
; WaveLimiterHint : 0
; COMPUTE_PGM_RSRC2:SCRATCH_EN: 0
; COMPUTE_PGM_RSRC2:USER_SGPR: 2
; COMPUTE_PGM_RSRC2:TRAP_HANDLER: 0
; COMPUTE_PGM_RSRC2:TGID_X_EN: 1
; COMPUTE_PGM_RSRC2:TGID_Y_EN: 1
; COMPUTE_PGM_RSRC2:TGID_Z_EN: 1
; COMPUTE_PGM_RSRC2:TIDIG_COMP_CNT: 2
	.text
	.p2alignl 7, 3214868480
	.fill 96, 4, 3214868480
	.section	.AMDGPU.gpr_maximums,"",@progbits
	.set amdgpu.max_num_vgpr, 0
	.set amdgpu.max_num_agpr, 0
	.set amdgpu.max_num_sgpr, 0
	.text
	.type	__hip_cuid_2fdabb58980dd9a6,@object ; @__hip_cuid_2fdabb58980dd9a6
	.section	.bss,"aw",@nobits
	.globl	__hip_cuid_2fdabb58980dd9a6
__hip_cuid_2fdabb58980dd9a6:
	.byte	0                               ; 0x0
	.size	__hip_cuid_2fdabb58980dd9a6, 1

	.ident	"AMD clang version 22.0.0git (https://github.com/RadeonOpenCompute/llvm-project roc-7.2.4 26084 f58b06dce1f9c15707c5f808fd002e18c2accf7e)"
	.section	".note.GNU-stack","",@progbits
	.addrsig
	.addrsig_sym __hip_cuid_2fdabb58980dd9a6
	.amdgpu_metadata
---
amdhsa.kernels:
  - .args:
      - .address_space:  global
        .offset:         0
        .size:           8
        .value_kind:     global_buffer
      - .offset:         8
        .size:           4
        .value_kind:     by_value
      - .offset:         12
        .size:           4
        .value_kind:     by_value
      - .offset:         16
        .size:           4
        .value_kind:     by_value
      - .offset:         20
        .size:           4
        .value_kind:     by_value
      - .offset:         24
        .size:           4
        .value_kind:     hidden_block_count_x
      - .offset:         28
        .size:           4
        .value_kind:     hidden_block_count_y
      - .offset:         32
        .size:           4
        .value_kind:     hidden_block_count_z
      - .offset:         36
        .size:           2
        .value_kind:     hidden_group_size_x
      - .offset:         38
        .size:           2
        .value_kind:     hidden_group_size_y
      - .offset:         40
        .size:           2
        .value_kind:     hidden_group_size_z
      - .offset:         42
        .size:           2
        .value_kind:     hidden_remainder_x
      - .offset:         44
        .size:           2
        .value_kind:     hidden_remainder_y
      - .offset:         46
        .size:           2
        .value_kind:     hidden_remainder_z
      - .offset:         64
        .size:           8
        .value_kind:     hidden_global_offset_x
      - .offset:         72
        .size:           8
        .value_kind:     hidden_global_offset_y
      - .offset:         80
        .size:           8
        .value_kind:     hidden_global_offset_z
      - .offset:         88
        .size:           2
        .value_kind:     hidden_grid_dims
    .group_segment_fixed_size: 0
    .kernarg_segment_align: 8
    .kernarg_segment_size: 280
    .language:       OpenCL C
    .language_version:
      - 2
      - 0
    .max_flat_workgroup_size: 1024
    .name:           _Z22pad_projections_kernelPdiiii
    .private_segment_fixed_size: 0
    .sgpr_count:     10
    .sgpr_spill_count: 0
    .symbol:         _Z22pad_projections_kernelPdiiii.kd
    .uniform_work_group_size: 1
    .uses_dynamic_stack: false
    .vgpr_count:     3
    .vgpr_spill_count: 0
    .wavefront_size: 32
  - .args:
      - .address_space:  global
        .offset:         0
        .size:           8
        .value_kind:     global_buffer
      - .offset:         8
        .size:           4
        .value_kind:     by_value
      - .offset:         16
        .size:           8
        .value_kind:     by_value
      - .offset:         24
        .size:           8
        .value_kind:     by_value
      - .offset:         32
        .size:           8
        .value_kind:     by_value
      - .offset:         40
        .size:           4
        .value_kind:     hidden_block_count_x
      - .offset:         44
        .size:           4
        .value_kind:     hidden_block_count_y
      - .offset:         48
        .size:           4
        .value_kind:     hidden_block_count_z
      - .offset:         52
        .size:           2
        .value_kind:     hidden_group_size_x
      - .offset:         54
        .size:           2
        .value_kind:     hidden_group_size_y
      - .offset:         56
        .size:           2
        .value_kind:     hidden_group_size_z
      - .offset:         58
        .size:           2
        .value_kind:     hidden_remainder_x
      - .offset:         60
        .size:           2
        .value_kind:     hidden_remainder_y
      - .offset:         62
        .size:           2
        .value_kind:     hidden_remainder_z
      - .offset:         80
        .size:           8
        .value_kind:     hidden_global_offset_x
      - .offset:         88
        .size:           8
        .value_kind:     hidden_global_offset_y
      - .offset:         96
        .size:           8
        .value_kind:     hidden_global_offset_z
      - .offset:         104
        .size:           2
        .value_kind:     hidden_grid_dims
    .group_segment_fixed_size: 0
    .kernarg_segment_align: 8
    .kernarg_segment_size: 296
    .language:       OpenCL C
    .language_version:
      - 2
      - 0
    .max_flat_workgroup_size: 1024
    .name:           _Z20map_boudaries_kernelPdiddd
    .private_segment_fixed_size: 0
    .sgpr_count:     8
    .sgpr_spill_count: 0
    .symbol:         _Z20map_boudaries_kernelPdiddd.kd
    .uniform_work_group_size: 1
    .uses_dynamic_stack: false
    .vgpr_count:     6
    .vgpr_spill_count: 0
    .wavefront_size: 32
  - .args:
      - .actual_access:  write_only
        .address_space:  global
        .offset:         0
        .size:           8
        .value_kind:     global_buffer
      - .actual_access:  write_only
        .address_space:  global
        .offset:         8
        .size:           8
        .value_kind:     global_buffer
      - .actual_access:  read_only
        .address_space:  global
        .offset:         16
        .size:           8
        .value_kind:     global_buffer
      - .actual_access:  read_only
        .address_space:  global
        .offset:         24
        .size:           8
        .value_kind:     global_buffer
      - .offset:         32
        .size:           8
        .value_kind:     by_value
      - .offset:         40
        .size:           8
        .value_kind:     by_value
      - .offset:         48
        .size:           8
        .value_kind:     by_value
      - .offset:         56
        .size:           4
        .value_kind:     by_value
      - .offset:         64
        .size:           4
        .value_kind:     hidden_block_count_x
      - .offset:         68
        .size:           4
        .value_kind:     hidden_block_count_y
      - .offset:         72
        .size:           4
        .value_kind:     hidden_block_count_z
      - .offset:         76
        .size:           2
        .value_kind:     hidden_group_size_x
      - .offset:         78
        .size:           2
        .value_kind:     hidden_group_size_y
      - .offset:         80
        .size:           2
        .value_kind:     hidden_group_size_z
      - .offset:         82
        .size:           2
        .value_kind:     hidden_remainder_x
      - .offset:         84
        .size:           2
        .value_kind:     hidden_remainder_y
      - .offset:         86
        .size:           2
        .value_kind:     hidden_remainder_z
      - .offset:         104
        .size:           8
        .value_kind:     hidden_global_offset_x
      - .offset:         112
        .size:           8
        .value_kind:     hidden_global_offset_y
      - .offset:         120
        .size:           8
        .value_kind:     hidden_global_offset_z
      - .offset:         128
        .size:           2
        .value_kind:     hidden_grid_dims
    .group_segment_fixed_size: 0
    .kernarg_segment_align: 8
    .kernarg_segment_size: 320
    .language:       OpenCL C
    .language_version:
      - 2
      - 0
    .max_flat_workgroup_size: 1024
    .name:           _Z19rot_detector_kernelPdS_PKdS1_dddi
    .private_segment_fixed_size: 0
    .sgpr_count:     16
    .sgpr_spill_count: 0
    .symbol:         _Z19rot_detector_kernelPdS_PKdS1_dddi.kd
    .uniform_work_group_size: 1
    .uses_dynamic_stack: false
    .vgpr_count:     58
    .vgpr_spill_count: 0
    .wavefront_size: 32
  - .args:
      - .actual_access:  write_only
        .address_space:  global
        .offset:         0
        .size:           8
        .value_kind:     global_buffer
      - .actual_access:  write_only
        .address_space:  global
        .offset:         8
        .size:           8
        .value_kind:     global_buffer
      - .offset:         16
        .size:           8
        .value_kind:     by_value
      - .offset:         24
        .size:           8
        .value_kind:     by_value
      - .offset:         32
        .size:           8
        .value_kind:     by_value
      - .actual_access:  read_only
        .address_space:  global
        .offset:         40
        .size:           8
        .value_kind:     global_buffer
      - .actual_access:  read_only
        .address_space:  global
        .offset:         48
        .size:           8
        .value_kind:     global_buffer
      - .actual_access:  read_only
        .address_space:  global
        .offset:         56
        .size:           8
        .value_kind:     global_buffer
      - .actual_access:  read_only
        .address_space:  global
        .offset:         64
        .size:           8
        .value_kind:     global_buffer
      - .offset:         72
        .size:           4
        .value_kind:     by_value
      - .offset:         76
        .size:           4
        .value_kind:     by_value
      - .offset:         80
        .size:           4
        .value_kind:     by_value
      - .offset:         88
        .size:           4
        .value_kind:     hidden_block_count_x
      - .offset:         92
        .size:           4
        .value_kind:     hidden_block_count_y
      - .offset:         96
        .size:           4
        .value_kind:     hidden_block_count_z
      - .offset:         100
        .size:           2
        .value_kind:     hidden_group_size_x
      - .offset:         102
        .size:           2
        .value_kind:     hidden_group_size_y
      - .offset:         104
        .size:           2
        .value_kind:     hidden_group_size_z
      - .offset:         106
        .size:           2
        .value_kind:     hidden_remainder_x
      - .offset:         108
        .size:           2
        .value_kind:     hidden_remainder_y
      - .offset:         110
        .size:           2
        .value_kind:     hidden_remainder_z
      - .offset:         128
        .size:           8
        .value_kind:     hidden_global_offset_x
      - .offset:         136
        .size:           8
        .value_kind:     hidden_global_offset_y
      - .offset:         144
        .size:           8
        .value_kind:     hidden_global_offset_z
      - .offset:         152
        .size:           2
        .value_kind:     hidden_grid_dims
    .group_segment_fixed_size: 0
    .kernarg_segment_align: 8
    .kernarg_segment_size: 344
    .language:       OpenCL C
    .language_version:
      - 2
      - 0
    .max_flat_workgroup_size: 1024
    .name:           _Z19mapDet2Slice_kernelPdS_dddPKdS1_S1_S1_iii
    .private_segment_fixed_size: 0
    .sgpr_count:     22
    .sgpr_spill_count: 0
    .symbol:         _Z19mapDet2Slice_kernelPdS_dddPKdS1_S1_S1_iii.kd
    .uniform_work_group_size: 1
    .uses_dynamic_stack: false
    .vgpr_count:     18
    .vgpr_spill_count: 0
    .wavefront_size: 32
  - .args:
      - .address_space:  global
        .offset:         0
        .size:           8
        .value_kind:     global_buffer
      - .offset:         8
        .size:           4
        .value_kind:     by_value
      - .offset:         12
        .size:           4
        .value_kind:     by_value
      - .offset:         16
        .size:           1
        .value_kind:     by_value
      - .offset:         20
        .size:           4
        .value_kind:     by_value
      - .offset:         24
        .size:           4
        .value_kind:     by_value
      - .offset:         28
        .size:           4
        .value_kind:     by_value
      - .offset:         32
        .size:           4
        .value_kind:     hidden_block_count_x
      - .offset:         36
        .size:           4
        .value_kind:     hidden_block_count_y
      - .offset:         40
        .size:           4
        .value_kind:     hidden_block_count_z
      - .offset:         44
        .size:           2
        .value_kind:     hidden_group_size_x
      - .offset:         46
        .size:           2
        .value_kind:     hidden_group_size_y
      - .offset:         48
        .size:           2
        .value_kind:     hidden_group_size_z
      - .offset:         50
        .size:           2
        .value_kind:     hidden_remainder_x
      - .offset:         52
        .size:           2
        .value_kind:     hidden_remainder_y
      - .offset:         54
        .size:           2
        .value_kind:     hidden_remainder_z
      - .offset:         72
        .size:           8
        .value_kind:     hidden_global_offset_x
      - .offset:         80
        .size:           8
        .value_kind:     hidden_global_offset_y
      - .offset:         88
        .size:           8
        .value_kind:     hidden_global_offset_z
      - .offset:         96
        .size:           2
        .value_kind:     hidden_grid_dims
    .group_segment_fixed_size: 0
    .kernarg_segment_align: 8
    .kernarg_segment_size: 288
    .language:       OpenCL C
    .language_version:
      - 2
      - 0
    .max_flat_workgroup_size: 1024
    .name:           _Z22img_integration_kernelPdiibiii
    .private_segment_fixed_size: 0
    .sgpr_count:     21
    .sgpr_spill_count: 0
    .symbol:         _Z22img_integration_kernelPdiibiii.kd
    .uniform_work_group_size: 1
    .uses_dynamic_stack: false
    .vgpr_count:     13
    .vgpr_spill_count: 0
    .wavefront_size: 32
  - .args:
      - .actual_access:  write_only
        .address_space:  global
        .offset:         0
        .size:           8
        .value_kind:     global_buffer
      - .actual_access:  read_only
        .address_space:  global
        .offset:         8
        .size:           8
        .value_kind:     global_buffer
      - .actual_access:  read_only
        .address_space:  global
        .offset:         16
        .size:           8
        .value_kind:     global_buffer
      - .actual_access:  read_only
        .address_space:  global
        .offset:         24
        .size:           8
        .value_kind:     global_buffer
      - .actual_access:  read_only
        .address_space:  global
        .offset:         32
        .size:           8
        .value_kind:     global_buffer
      - .actual_access:  read_only
        .address_space:  global
        .offset:         40
        .size:           8
        .value_kind:     global_buffer
      - .offset:         48
        .size:           4
        .value_kind:     by_value
      - .offset:         52
        .size:           4
        .value_kind:     by_value
      - .offset:         56
        .size:           4
        .value_kind:     by_value
      - .offset:         60
        .size:           4
        .value_kind:     by_value
      - .offset:         64
        .size:           4
        .value_kind:     by_value
      - .offset:         68
        .size:           4
        .value_kind:     by_value
      - .offset:         72
        .size:           4
        .value_kind:     by_value
      - .offset:         80
        .size:           4
        .value_kind:     hidden_block_count_x
      - .offset:         84
        .size:           4
        .value_kind:     hidden_block_count_y
      - .offset:         88
        .size:           4
        .value_kind:     hidden_block_count_z
      - .offset:         92
        .size:           2
        .value_kind:     hidden_group_size_x
      - .offset:         94
        .size:           2
        .value_kind:     hidden_group_size_y
      - .offset:         96
        .size:           2
        .value_kind:     hidden_group_size_z
      - .offset:         98
        .size:           2
        .value_kind:     hidden_remainder_x
      - .offset:         100
        .size:           2
        .value_kind:     hidden_remainder_y
      - .offset:         102
        .size:           2
        .value_kind:     hidden_remainder_z
      - .offset:         120
        .size:           8
        .value_kind:     hidden_global_offset_x
      - .offset:         128
        .size:           8
        .value_kind:     hidden_global_offset_y
      - .offset:         136
        .size:           8
        .value_kind:     hidden_global_offset_z
      - .offset:         144
        .size:           2
        .value_kind:     hidden_grid_dims
    .group_segment_fixed_size: 0
    .kernarg_segment_align: 8
    .kernarg_segment_size: 336
    .language:       OpenCL C
    .language_version:
      - 2
      - 0
    .max_flat_workgroup_size: 1024
    .name:           _Z29bilinear_interpolation_kernelPdPKdS1_S1_S1_S1_iiiiiii
    .private_segment_fixed_size: 0
    .sgpr_count:     25
    .sgpr_spill_count: 0
    .symbol:         _Z29bilinear_interpolation_kernelPdPKdS1_S1_S1_S1_iiiiiii.kd
    .uniform_work_group_size: 1
    .uses_dynamic_stack: false
    .vgpr_count:     30
    .vgpr_spill_count: 0
    .wavefront_size: 32
  - .args:
      - .address_space:  global
        .offset:         0
        .size:           8
        .value_kind:     global_buffer
      - .actual_access:  read_only
        .address_space:  global
        .offset:         8
        .size:           8
        .value_kind:     global_buffer
      - .offset:         16
        .size:           8
        .value_kind:     by_value
      - .offset:         24
        .size:           8
        .value_kind:     by_value
      - .offset:         32
        .size:           8
        .value_kind:     by_value
      - .actual_access:  read_only
        .address_space:  global
        .offset:         40
        .size:           8
        .value_kind:     global_buffer
      - .actual_access:  read_only
        .address_space:  global
        .offset:         48
        .size:           8
        .value_kind:     global_buffer
      - .actual_access:  read_only
        .address_space:  global
        .offset:         56
        .size:           8
        .value_kind:     global_buffer
      - .offset:         64
        .size:           4
        .value_kind:     by_value
      - .offset:         68
        .size:           4
        .value_kind:     by_value
      - .offset:         72
        .size:           4
        .value_kind:     by_value
      - .offset:         76
        .size:           4
        .value_kind:     by_value
      - .offset:         80
        .size:           8
        .value_kind:     by_value
      - .offset:         88
        .size:           8
        .value_kind:     by_value
      - .offset:         96
        .size:           8
        .value_kind:     by_value
      - .offset:         104
        .size:           8
        .value_kind:     by_value
      - .offset:         112
        .size:           8
        .value_kind:     by_value
      - .offset:         120
        .size:           4
        .value_kind:     by_value
      - .offset:         128
        .size:           4
        .value_kind:     hidden_block_count_x
      - .offset:         132
        .size:           4
        .value_kind:     hidden_block_count_y
      - .offset:         136
        .size:           4
        .value_kind:     hidden_block_count_z
      - .offset:         140
        .size:           2
        .value_kind:     hidden_group_size_x
      - .offset:         142
        .size:           2
        .value_kind:     hidden_group_size_y
      - .offset:         144
        .size:           2
        .value_kind:     hidden_group_size_z
      - .offset:         146
        .size:           2
        .value_kind:     hidden_remainder_x
      - .offset:         148
        .size:           2
        .value_kind:     hidden_remainder_y
      - .offset:         150
        .size:           2
        .value_kind:     hidden_remainder_z
      - .offset:         168
        .size:           8
        .value_kind:     hidden_global_offset_x
      - .offset:         176
        .size:           8
        .value_kind:     hidden_global_offset_y
      - .offset:         184
        .size:           8
        .value_kind:     hidden_global_offset_z
      - .offset:         192
        .size:           2
        .value_kind:     hidden_grid_dims
    .group_segment_fixed_size: 0
    .kernarg_segment_align: 8
    .kernarg_segment_size: 384
    .language:       OpenCL C
    .language_version:
      - 2
      - 0
    .max_flat_workgroup_size: 1024
    .name:           _Z22differentiation_kernelPdPKddddS1_S1_S1_iiiidddddi
    .private_segment_fixed_size: 0
    .sgpr_count:     30
    .sgpr_spill_count: 0
    .symbol:         _Z22differentiation_kernelPdPKddddS1_S1_S1_iiiidddddi.kd
    .uniform_work_group_size: 1
    .uses_dynamic_stack: false
    .vgpr_count:     58
    .vgpr_spill_count: 0
    .wavefront_size: 32
  - .args:
      - .address_space:  global
        .offset:         0
        .size:           8
        .value_kind:     global_buffer
      - .offset:         8
        .size:           4
        .value_kind:     by_value
      - .offset:         12
        .size:           4
        .value_kind:     by_value
      - .offset:         16
        .size:           4
        .value_kind:     by_value
      - .offset:         20
        .size:           4
        .value_kind:     by_value
      - .offset:         24
        .size:           4
        .value_kind:     hidden_block_count_x
      - .offset:         28
        .size:           4
        .value_kind:     hidden_block_count_y
      - .offset:         32
        .size:           4
        .value_kind:     hidden_block_count_z
      - .offset:         36
        .size:           2
        .value_kind:     hidden_group_size_x
      - .offset:         38
        .size:           2
        .value_kind:     hidden_group_size_y
      - .offset:         40
        .size:           2
        .value_kind:     hidden_group_size_z
      - .offset:         42
        .size:           2
        .value_kind:     hidden_remainder_x
      - .offset:         44
        .size:           2
        .value_kind:     hidden_remainder_y
      - .offset:         46
        .size:           2
        .value_kind:     hidden_remainder_z
      - .offset:         64
        .size:           8
        .value_kind:     hidden_global_offset_x
      - .offset:         72
        .size:           8
        .value_kind:     hidden_global_offset_y
      - .offset:         80
        .size:           8
        .value_kind:     hidden_global_offset_z
      - .offset:         88
        .size:           2
        .value_kind:     hidden_grid_dims
    .group_segment_fixed_size: 0
    .kernarg_segment_align: 8
    .kernarg_segment_size: 280
    .language:       OpenCL C
    .language_version:
      - 2
      - 0
    .max_flat_workgroup_size: 1024
    .name:           _Z15division_kernelPdiiii
    .private_segment_fixed_size: 0
    .sgpr_count:     18
    .sgpr_spill_count: 0
    .symbol:         _Z15division_kernelPdiiii.kd
    .uniform_work_group_size: 1
    .uses_dynamic_stack: false
    .vgpr_count:     13
    .vgpr_spill_count: 0
    .wavefront_size: 32
amdhsa.target:   amdgcn-amd-amdhsa--gfx1250
amdhsa.version:
  - 1
  - 2
...

	.end_amdgpu_metadata
